;; amdgpu-corpus repo=ROCm/rocFFT kind=compiled arch=gfx950 opt=O3
	.text
	.amdgcn_target "amdgcn-amd-amdhsa--gfx950"
	.amdhsa_code_object_version 6
	.protected	bluestein_single_back_len1170_dim1_sp_op_CI_CI ; -- Begin function bluestein_single_back_len1170_dim1_sp_op_CI_CI
	.globl	bluestein_single_back_len1170_dim1_sp_op_CI_CI
	.p2align	8
	.type	bluestein_single_back_len1170_dim1_sp_op_CI_CI,@function
bluestein_single_back_len1170_dim1_sp_op_CI_CI: ; @bluestein_single_back_len1170_dim1_sp_op_CI_CI
; %bb.0:
	s_load_dwordx4 s[8:11], s[0:1], 0x28
	v_mul_u32_u24_e32 v1, 0x231, v0
	v_mov_b32_e32 v99, 0
	v_add_u32_sdwa v110, s2, v1 dst_sel:DWORD dst_unused:UNUSED_PAD src0_sel:DWORD src1_sel:WORD_1
	v_mov_b32_e32 v111, v99
	s_waitcnt lgkmcnt(0)
	v_cmp_gt_u64_e32 vcc, s[8:9], v[110:111]
	s_and_saveexec_b64 s[2:3], vcc
	s_cbranch_execz .LBB0_26
; %bb.1:
	s_load_dwordx4 s[4:7], s[0:1], 0x18
	s_load_dwordx4 s[12:15], s[0:1], 0x0
	v_mov_b32_e32 v2, s10
	v_mov_b32_e32 v3, s11
	s_movk_i32 s2, 0x75
	s_waitcnt lgkmcnt(0)
	s_load_dwordx4 s[8:11], s[4:5], 0x0
	v_mul_lo_u16_sdwa v1, v1, s2 dst_sel:DWORD dst_unused:UNUSED_PAD src0_sel:WORD_1 src1_sel:DWORD
	v_sub_u16_e32 v98, v0, v1
	v_mov_b32_e32 v22, 0x1248
	v_lshlrev_b32_e32 v96, 3, v98
	s_waitcnt lgkmcnt(0)
	v_mad_u64_u32 v[0:1], s[2:3], s10, v110, 0
	v_mov_b32_e32 v4, v1
	v_mad_u64_u32 v[4:5], s[2:3], s11, v110, v[4:5]
	v_mov_b32_e32 v1, v4
	v_mad_u64_u32 v[4:5], s[2:3], s8, v98, 0
	v_mov_b32_e32 v6, v5
	v_mad_u64_u32 v[6:7], s[2:3], s9, v98, v[6:7]
	v_mov_b32_e32 v5, v6
	v_lshl_add_u64 v[0:1], v[0:1], 3, v[2:3]
	v_lshl_add_u64 v[0:1], v[4:5], 3, v[0:1]
	global_load_dwordx2 v[2:3], v[0:1], off
	v_mov_b32_e32 v97, v99
	v_mad_u64_u32 v[0:1], s[2:3], s8, v22, v[0:1]
	s_mul_i32 s4, s9, 0x1248
	v_lshl_add_u64 v[4:5], s[12:13], 0, v[96:97]
	v_add_u32_e32 v1, s4, v1
	s_movk_i32 s2, 0x1000
	v_mov_b32_e32 v23, 0xfffff160
	v_add_co_u32_e32 v6, vcc, s2, v4
	v_mad_u64_u32 v[8:9], s[2:3], s8, v23, v[0:1]
	s_mul_i32 s2, s9, 0xfffff160
	s_sub_i32 s5, s2, s8
	v_addc_co_u32_e32 v7, vcc, 0, v5, vcc
	v_add_u32_e32 v9, s5, v9
	global_load_dwordx2 v[114:115], v[6:7], off offset:584
	global_load_dwordx2 v[120:121], v96, s[12:13]
	global_load_dwordx2 v[116:117], v96, s[12:13] offset:936
	global_load_dwordx2 v[10:11], v[0:1], off
	v_mad_u64_u32 v[0:1], s[2:3], s8, v22, v[8:9]
	v_add_u32_e32 v1, s4, v1
	v_mad_u64_u32 v[12:13], s[2:3], s8, v23, v[0:1]
	v_add_u32_e32 v13, s5, v13
	global_load_dwordx2 v[8:9], v[8:9], off
	s_nop 0
	global_load_dwordx2 v[14:15], v[0:1], off
	global_load_dwordx2 v[16:17], v[12:13], off
	global_load_dwordx2 v[118:119], v[6:7], off offset:1520
	v_mad_u64_u32 v[0:1], s[2:3], s8, v22, v[12:13]
	v_add_u32_e32 v1, s4, v1
	global_load_dwordx2 v[12:13], v[0:1], off
	global_load_dwordx2 v[106:107], v[6:7], off offset:2456
	global_load_dwordx2 v[112:113], v96, s[12:13] offset:1872
	v_mad_u64_u32 v[0:1], s[2:3], s8, v23, v[0:1]
	v_add_u32_e32 v1, s5, v1
	global_load_dwordx2 v[18:19], v[0:1], off
	global_load_dwordx2 v[108:109], v96, s[12:13] offset:2808
	v_mad_u64_u32 v[0:1], s[2:3], s8, v22, v[0:1]
	v_add_u32_e32 v1, s4, v1
	global_load_dwordx2 v[20:21], v[0:1], off
	global_load_dwordx2 v[230:231], v[6:7], off offset:3392
	v_mad_u64_u32 v[0:1], s[2:3], s8, v23, v[0:1]
	v_add_u32_e32 v1, s5, v1
	global_load_dwordx2 v[6:7], v[0:1], off
	global_load_dwordx2 v[226:227], v96, s[12:13] offset:3744
	v_mad_u64_u32 v[0:1], s[2:3], s8, v22, v[0:1]
	s_movk_i32 s2, 0x2000
	s_nop 0
	v_add_co_u32_e32 v4, vcc, s2, v4
	v_add_u32_e32 v1, s4, v1
	s_nop 0
	v_addc_co_u32_e32 v5, vcc, 0, v5, vcc
	global_load_dwordx2 v[228:229], v[4:5], off offset:232
	global_load_dwordx2 v[22:23], v[0:1], off
	s_load_dwordx4 s[8:11], s[6:7], 0x0
	s_load_dwordx2 s[16:17], s[0:1], 0x38
	s_mov_b64 s[0:1], 0x75
	v_lshl_add_u64 v[56:57], v[98:99], 0, s[0:1]
	s_mov_b64 s[0:1], 0xea
	v_lshl_add_u64 v[60:61], v[98:99], 0, s[0:1]
	;; [unrolled: 2-line block ×3, first 2 shown]
	s_movk_i32 s0, 0x59
	v_cmp_lt_u16_e64 s[4:5], s0, v98
	s_movk_i32 s0, 0x5a
	v_lshlrev_b32_e32 v210, 4, v98
	v_lshlrev_b32_e32 v211, 4, v56
	;; [unrolled: 1-line block ×4, first 2 shown]
	v_cmp_gt_u16_e64 s[0:1], s0, v98
                                        ; implicit-def: $vgpr50
                                        ; implicit-def: $vgpr52
                                        ; implicit-def: $vgpr48
                                        ; implicit-def: $vgpr54
                                        ; implicit-def: $vgpr44
	s_waitcnt vmcnt(17)
	v_mul_f32_e32 v0, v3, v121
	v_mul_f32_e32 v1, v2, v121
	v_fmac_f32_e32 v0, v2, v120
	v_fma_f32 v1, v3, v120, -v1
	s_waitcnt vmcnt(15)
	v_mul_f32_e32 v2, v11, v115
	v_mul_f32_e32 v3, v10, v115
	v_fmac_f32_e32 v2, v10, v114
	v_fma_f32 v3, v11, v114, -v3
	ds_write_b64 v96, v[2:3] offset:4680
	s_waitcnt vmcnt(14)
	v_mul_f32_e32 v2, v9, v117
	v_mul_f32_e32 v3, v8, v117
	v_fmac_f32_e32 v2, v8, v116
	v_fma_f32 v3, v9, v116, -v3
	ds_write2_b64 v96, v[0:1], v[2:3] offset1:117
	s_waitcnt vmcnt(11)
	v_mul_f32_e32 v0, v14, v119
	v_fma_f32 v3, v15, v118, -v0
	s_waitcnt vmcnt(8)
	v_mul_f32_e32 v0, v16, v113
	v_mul_f32_e32 v2, v15, v119
	v_fma_f32 v5, v17, v112, -v0
	v_mul_f32_e32 v8, v13, v107
	v_mul_f32_e32 v0, v12, v107
	v_fmac_f32_e32 v2, v14, v118
	v_fmac_f32_e32 v8, v12, v106
	v_fma_f32 v9, v13, v106, -v0
	v_add_u32_e32 v0, 0x1400, v96
	v_mul_f32_e32 v4, v17, v113
	ds_write2_b64 v0, v[2:3], v[8:9] offset0:62 offset1:179
	s_waitcnt vmcnt(6)
	v_mul_f32_e32 v2, v19, v109
	v_mul_f32_e32 v1, v18, v109
	v_fmac_f32_e32 v4, v16, v112
	v_fmac_f32_e32 v2, v18, v108
	v_fma_f32 v3, v19, v108, -v1
	v_add_u32_e32 v1, 0x400, v96
	ds_write2_b64 v1, v[4:5], v[2:3] offset0:106 offset1:223
	s_waitcnt vmcnt(2)
	v_mul_f32_e32 v4, v7, v227
	v_mul_f32_e32 v5, v6, v227
	v_fmac_f32_e32 v4, v6, v226
	v_fma_f32 v5, v7, v226, -v5
	v_mul_f32_e32 v2, v21, v231
	v_mul_f32_e32 v3, v20, v231
	ds_write_b64 v96, v[4:5] offset:3744
	s_waitcnt vmcnt(0)
	v_mul_f32_e32 v4, v23, v229
	v_mul_f32_e32 v5, v22, v229
	v_fmac_f32_e32 v2, v20, v230
	v_fma_f32 v3, v21, v230, -v3
	v_fmac_f32_e32 v4, v22, v228
	v_fma_f32 v5, v23, v228, -v5
	v_add_u32_e32 v12, 0x1c00, v96
	ds_write2_b64 v12, v[2:3], v[4:5] offset0:40 offset1:157
	s_waitcnt lgkmcnt(0)
	s_barrier
	v_add_u32_e32 v6, 0xc00, v96
	ds_read2_b64 v[14:17], v0 offset0:62 offset1:179
	ds_read2_b64 v[26:29], v1 offset0:106 offset1:223
	ds_read2_b64 v[2:5], v96 offset1:117
	ds_read2_b64 v[6:9], v6 offset0:84 offset1:201
	ds_read2_b64 v[30:33], v12 offset0:40 offset1:157
	s_waitcnt lgkmcnt(0)
	v_pk_add_f32 v[22:23], v[26:27], v[16:17] neg_lo:[0,1] neg_hi:[0,1]
	v_pk_add_f32 v[14:15], v[4:5], v[14:15] neg_lo:[0,1] neg_hi:[0,1]
	;; [unrolled: 1-line block ×3, first 2 shown]
	v_pk_fma_f32 v[20:21], v[26:27], 2.0, v[22:23] op_sel_hi:[1,0,1] neg_lo:[0,0,1] neg_hi:[0,0,1]
	v_pk_add_f32 v[26:27], v[28:29], v[30:31] neg_lo:[0,1] neg_hi:[0,1]
	v_pk_add_f32 v[42:43], v[6:7], v[32:33] neg_lo:[0,1] neg_hi:[0,1]
	v_pk_fma_f32 v[8:9], v[2:3], 2.0, v[10:11] op_sel_hi:[1,0,1] neg_lo:[0,0,1] neg_hi:[0,0,1]
	v_pk_fma_f32 v[12:13], v[4:5], 2.0, v[14:15] op_sel_hi:[1,0,1] neg_lo:[0,0,1] neg_hi:[0,0,1]
	;; [unrolled: 1-line block ×4, first 2 shown]
	s_barrier
	ds_write_b128 v210, v[8:11]
	ds_write_b128 v211, v[12:15]
	ds_write_b128 v212, v[20:23]
	ds_write_b128 v213, v[24:27]
	ds_write_b128 v210, v[40:43] offset:7488
	s_waitcnt lgkmcnt(0)
	s_barrier
	s_and_saveexec_b64 s[2:3], s[0:1]
	s_cbranch_execz .LBB0_3
; %bb.2:
	ds_read2_b64 v[8:11], v96 offset1:90
	ds_read2_b64 v[12:15], v1 offset0:52 offset1:142
	v_add_u32_e32 v1, 0x800, v96
	v_add_u32_e32 v2, 0x1800, v96
	ds_read2_b64 v[20:23], v1 offset0:104 offset1:194
	v_add_u32_e32 v1, 0x1000, v96
	ds_read2_b64 v[44:47], v2 offset0:132 offset1:222
	ds_read2_b64 v[24:27], v1 offset0:28 offset1:118
	ds_read_b64 v[48:49], v96 offset:8640
	ds_read2_b64 v[40:43], v0 offset0:80 offset1:170
	s_waitcnt lgkmcnt(3)
	v_mov_b32_e32 v50, v45
	v_mov_b32_e32 v52, v47
	s_waitcnt lgkmcnt(1)
	v_mov_b32_e32 v54, v49
.LBB0_3:
	s_or_b64 exec, exec, s[2:3]
	v_and_b32_e32 v232, 1, v98
	v_mul_u32_u24_e32 v0, 12, v232
	v_lshlrev_b32_e32 v45, 3, v0
	global_load_dwordx4 v[16:19], v45, s[14:15]
	global_load_dwordx4 v[4:7], v45, s[14:15] offset:16
	global_load_dwordx4 v[0:3], v45, s[14:15] offset:32
	;; [unrolled: 1-line block ×5, first 2 shown]
	s_mov_b32 s26, 0xbeedf032
	s_mov_b32 s6, 0x3f62ad3f
	;; [unrolled: 1-line block ×15, first 2 shown]
	v_lshrrev_b32_e32 v240, 1, v98
	s_waitcnt lgkmcnt(0)
	s_barrier
	s_waitcnt vmcnt(5)
	v_pk_mul_f32 v[62:63], v[12:13], v[18:19] op_sel:[1,0]
	s_waitcnt vmcnt(4)
	v_pk_mul_f32 v[64:65], v[14:15], v[4:5] op_sel:[1,0]
	v_pk_mul_f32 v[66:67], v[20:21], v[6:7] op_sel:[1,0]
	s_waitcnt vmcnt(3)
	v_pk_mul_f32 v[70:71], v[22:23], v[0:1] op_sel:[1,0]
	;; [unrolled: 3-line block ×4, first 2 shown]
	v_pk_mul_f32 v[80:81], v[50:51], v[34:35] op_sel_hi:[0,1]
	s_waitcnt vmcnt(0)
	v_pk_mul_f32 v[82:83], v[52:53], v[36:37] op_sel_hi:[0,1]
	v_pk_mul_f32 v[84:85], v[54:55], v[38:39] op_sel_hi:[0,1]
	v_pk_mul_f32 v[86:87], v[10:11], v[16:17] op_sel:[1,1] op_sel_hi:[1,0]
	v_pk_fma_f32 v[50:51], v[12:13], v[18:19], v[62:63] op_sel:[0,0,1] op_sel_hi:[1,1,0] neg_lo:[0,0,1] neg_hi:[0,0,1]
	v_pk_fma_f32 v[12:13], v[12:13], v[18:19], v[62:63] op_sel:[0,0,1] op_sel_hi:[0,1,0]
	v_pk_fma_f32 v[52:53], v[14:15], v[4:5], v[64:65] op_sel:[0,0,1] op_sel_hi:[1,1,0] neg_lo:[0,0,1] neg_hi:[0,0,1]
	v_pk_fma_f32 v[14:15], v[14:15], v[4:5], v[64:65] op_sel:[0,0,1] op_sel_hi:[0,1,0]
	v_pk_fma_f32 v[54:55], v[20:21], v[6:7], v[66:67] op_sel:[0,0,1] op_sel_hi:[1,1,0] neg_lo:[0,0,1] neg_hi:[0,0,1]
	v_pk_fma_f32 v[20:21], v[20:21], v[6:7], v[66:67] op_sel:[0,0,1] op_sel_hi:[0,1,0]
	v_pk_fma_f32 v[68:69], v[22:23], v[0:1], v[70:71] op_sel:[0,0,1] op_sel_hi:[1,1,0] neg_lo:[0,0,1] neg_hi:[0,0,1]
	v_pk_fma_f32 v[22:23], v[22:23], v[0:1], v[70:71] op_sel:[0,0,1] op_sel_hi:[0,1,0]
	v_pk_fma_f32 v[70:71], v[24:25], v[2:3], v[72:73] op_sel:[0,0,1] op_sel_hi:[1,1,0] neg_lo:[0,0,1] neg_hi:[0,0,1]
	v_pk_fma_f32 v[24:25], v[24:25], v[2:3], v[72:73] op_sel:[0,0,1] op_sel_hi:[0,1,0]
	v_pk_fma_f32 v[72:73], v[26:27], v[28:29], v[74:75] op_sel:[0,0,1] op_sel_hi:[1,1,0] neg_lo:[0,0,1] neg_hi:[0,0,1]
	v_pk_fma_f32 v[62:63], v[26:27], v[28:29], v[74:75] op_sel:[0,0,1] op_sel_hi:[0,1,0]
	v_pk_fma_f32 v[26:27], v[40:41], v[30:31], v[76:77] op_sel:[0,0,1] op_sel_hi:[1,1,0] neg_lo:[0,0,1] neg_hi:[0,0,1]
	v_pk_fma_f32 v[64:65], v[40:41], v[30:31], v[76:77] op_sel:[0,0,1] op_sel_hi:[0,1,0]
	v_pk_fma_f32 v[40:41], v[42:43], v[32:33], v[78:79] op_sel:[0,0,1] op_sel_hi:[1,1,0] neg_lo:[0,0,1] neg_hi:[0,0,1]
	v_pk_fma_f32 v[66:67], v[42:43], v[32:33], v[78:79] op_sel:[0,0,1] op_sel_hi:[0,1,0]
	v_pk_fma_f32 v[42:43], v[44:45], v[34:35], v[80:81] op_sel:[0,0,1] op_sel_hi:[1,1,0] neg_lo:[0,0,1] neg_hi:[0,0,1]
	v_pk_fma_f32 v[74:75], v[44:45], v[34:35], v[80:81] op_sel:[0,0,1] op_sel_hi:[0,1,0]
	v_pk_fma_f32 v[44:45], v[46:47], v[36:37], v[82:83] op_sel:[0,0,1] op_sel_hi:[1,1,0] neg_lo:[0,0,1] neg_hi:[0,0,1]
	v_pk_fma_f32 v[76:77], v[46:47], v[36:37], v[82:83] op_sel:[0,0,1] op_sel_hi:[0,1,0]
	v_pk_fma_f32 v[46:47], v[48:49], v[38:39], v[84:85] op_sel:[0,0,1] op_sel_hi:[1,1,0] neg_lo:[0,0,1] neg_hi:[0,0,1]
	v_pk_fma_f32 v[78:79], v[48:49], v[38:39], v[84:85] op_sel:[0,0,1] op_sel_hi:[0,1,0]
	v_pk_fma_f32 v[48:49], v[10:11], v[16:17], v[86:87] neg_lo:[0,0,1] neg_hi:[0,0,1]
	v_pk_fma_f32 v[10:11], v[10:11], v[16:17], v[86:87] op_sel_hi:[0,1,1]
	v_mov_b32_e32 v49, v11
	v_mov_b32_e32 v47, v79
	v_mov_b32_e32 v51, v13
	v_mov_b32_e32 v45, v77
	v_pk_add_f32 v[90:91], v[48:49], v[46:47] neg_lo:[0,1] neg_hi:[0,1]
	v_mov_b32_e32 v53, v15
	v_mov_b32_e32 v55, v21
	;; [unrolled: 1-line block ×4, first 2 shown]
	v_pk_add_f32 v[20:21], v[48:49], v[46:47]
	v_pk_add_f32 v[92:93], v[50:51], v[44:45] neg_lo:[0,1] neg_hi:[0,1]
	v_pk_mul_f32 v[22:23], v[90:91], s[26:27] op_sel:[1,0] op_sel_hi:[0,0]
	v_mov_b32_e32 v71, v25
	v_mov_b32_e32 v41, v67
	v_pk_add_f32 v[14:15], v[50:51], v[44:45]
	v_pk_add_f32 v[94:95], v[52:53], v[42:43] neg_lo:[0,1] neg_hi:[0,1]
	v_pk_mul_f32 v[24:25], v[92:93], s[24:25] op_sel:[1,0] op_sel_hi:[0,0]
	v_pk_fma_f32 v[84:85], v[20:21], s[6:7], v[22:23] op_sel_hi:[1,0,1]
	v_pk_fma_f32 v[86:87], v[20:21], s[6:7], v[22:23] op_sel_hi:[1,0,1] neg_lo:[0,0,1] neg_hi:[0,0,1]
	v_mov_b32_e32 v73, v63
	v_pk_add_f32 v[12:13], v[52:53], v[42:43]
	v_pk_add_f32 v[124:125], v[54:55], v[40:41] neg_lo:[0,1] neg_hi:[0,1]
	v_pk_mul_f32 v[62:63], v[94:95], s[40:41] op_sel:[1,0] op_sel_hi:[0,0]
	v_pk_fma_f32 v[80:81], v[14:15], s[2:3], v[24:25] op_sel_hi:[1,0,1]
	v_pk_fma_f32 v[82:83], v[14:15], s[2:3], v[24:25] op_sel_hi:[1,0,1] neg_lo:[0,0,1] neg_hi:[0,0,1]
	v_mov_b32_e32 v22, v84
	v_mov_b32_e32 v23, v87
	;; [unrolled: 1-line block ×3, first 2 shown]
	v_pk_add_f32 v[10:11], v[54:55], v[40:41]
	v_pk_mul_f32 v[64:65], v[124:125], s[22:23] op_sel:[1,0] op_sel_hi:[0,0]
	v_pk_fma_f32 v[76:77], v[12:13], s[18:19], v[62:63] op_sel_hi:[1,0,1]
	v_pk_fma_f32 v[78:79], v[12:13], s[18:19], v[62:63] op_sel_hi:[1,0,1] neg_lo:[0,0,1] neg_hi:[0,0,1]
	v_mov_b32_e32 v24, v80
	v_mov_b32_e32 v25, v83
	v_pk_add_f32 v[22:23], v[8:9], v[22:23]
	v_pk_fma_f32 v[74:75], v[10:11], s[20:21], v[64:65] op_sel_hi:[1,0,1]
	v_mov_b32_e32 v62, v76
	v_mov_b32_e32 v63, v79
	v_pk_add_f32 v[22:23], v[24:25], v[22:23]
	v_pk_fma_f32 v[88:89], v[10:11], s[20:21], v[64:65] op_sel_hi:[1,0,1] neg_lo:[0,0,1] neg_hi:[0,0,1]
	v_pk_add_f32 v[22:23], v[62:63], v[22:23]
	v_mov_b32_e32 v24, v74
	v_mov_b32_e32 v25, v89
	v_pk_add_f32 v[150:151], v[68:69], v[26:27] neg_lo:[0,1] neg_hi:[0,1]
	v_pk_add_f32 v[24:25], v[24:25], v[22:23]
	s_mov_b32 s26, 0xbf3f9e67
	v_pk_add_f32 v[22:23], v[68:69], v[26:27]
	v_pk_mul_f32 v[62:63], v[150:151], s[28:29] op_sel:[1,0] op_sel_hi:[0,0]
	v_pk_fma_f32 v[126:127], v[22:23], s[26:27], v[62:63] op_sel_hi:[1,0,1]
	v_pk_fma_f32 v[128:129], v[22:23], s[26:27], v[62:63] op_sel_hi:[1,0,1] neg_lo:[0,0,1] neg_hi:[0,0,1]
	v_mov_b32_e32 v62, v126
	v_mov_b32_e32 v63, v129
	v_pk_add_f32 v[166:167], v[70:71], v[72:73] neg_lo:[0,1] neg_hi:[0,1]
	v_pk_add_f32 v[62:63], v[62:63], v[24:25]
	v_pk_add_f32 v[24:25], v[70:71], v[72:73]
	v_pk_mul_f32 v[64:65], v[166:167], s[34:35] op_sel:[1,0] op_sel_hi:[0,0]
	v_pk_fma_f32 v[130:131], v[24:25], s[30:31], v[64:65] op_sel_hi:[1,0,1]
	v_pk_fma_f32 v[132:133], v[24:25], s[30:31], v[64:65] op_sel_hi:[1,0,1] neg_lo:[0,0,1] neg_hi:[0,0,1]
	v_mov_b32_e32 v64, v130
	v_mov_b32_e32 v65, v133
	v_pk_add_f32 v[122:123], v[64:65], v[62:63]
	v_pk_mul_f32 v[62:63], v[90:91], s[24:25] op_sel:[1,0] op_sel_hi:[0,0]
	v_pk_fma_f32 v[134:135], v[20:21], s[2:3], v[62:63] op_sel_hi:[1,0,1]
	v_pk_fma_f32 v[136:137], v[20:21], s[2:3], v[62:63] op_sel_hi:[1,0,1] neg_lo:[0,0,1] neg_hi:[0,0,1]
	v_pk_mul_f32 v[64:65], v[92:93], s[22:23] op_sel:[1,0] op_sel_hi:[0,0]
	v_mov_b32_e32 v62, v134
	v_mov_b32_e32 v63, v137
	v_pk_fma_f32 v[138:139], v[14:15], s[20:21], v[64:65] op_sel_hi:[1,0,1]
	v_pk_fma_f32 v[140:141], v[14:15], s[20:21], v[64:65] op_sel_hi:[1,0,1] neg_lo:[0,0,1] neg_hi:[0,0,1]
	v_pk_add_f32 v[62:63], v[8:9], v[62:63]
	v_mov_b32_e32 v64, v138
	v_mov_b32_e32 v65, v141
	v_pk_add_f32 v[62:63], v[64:65], v[62:63]
	v_pk_mul_f32 v[64:65], v[94:95], s[34:35] op_sel:[1,0] op_sel_hi:[0,0]
	v_pk_fma_f32 v[142:143], v[12:13], s[30:31], v[64:65] op_sel_hi:[1,0,1]
	v_pk_fma_f32 v[144:145], v[12:13], s[30:31], v[64:65] op_sel_hi:[1,0,1] neg_lo:[0,0,1] neg_hi:[0,0,1]
	v_mov_b32_e32 v64, v142
	v_mov_b32_e32 v65, v145
	v_pk_add_f32 v[62:63], v[64:65], v[62:63]
	v_pk_mul_f32 v[64:65], v[124:125], s[42:43] op_sel:[1,0] op_sel_hi:[0,0]
	v_pk_fma_f32 v[146:147], v[10:11], s[26:27], v[64:65] op_sel_hi:[1,0,1]
	v_pk_fma_f32 v[148:149], v[10:11], s[26:27], v[64:65] op_sel_hi:[1,0,1] neg_lo:[0,0,1] neg_hi:[0,0,1]
	;; [unrolled: 6-line block ×5, first 2 shown]
	v_pk_mul_f32 v[66:67], v[92:93], s[34:35] op_sel:[1,0] op_sel_hi:[0,0]
	v_mov_b32_e32 v62, v160
	v_mov_b32_e32 v63, v163
	v_pk_fma_f32 v[164:165], v[14:15], s[30:31], v[66:67] op_sel_hi:[1,0,1]
	v_pk_fma_f32 v[168:169], v[14:15], s[30:31], v[66:67] op_sel_hi:[1,0,1] neg_lo:[0,0,1] neg_hi:[0,0,1]
	v_pk_add_f32 v[62:63], v[8:9], v[62:63]
	v_mov_b32_e32 v66, v164
	v_mov_b32_e32 v67, v169
	v_pk_add_f32 v[62:63], v[66:67], v[62:63]
	v_pk_mul_f32 v[66:67], v[94:95], s[44:45] op_sel:[1,0] op_sel_hi:[0,0]
	v_pk_fma_f32 v[170:171], v[12:13], s[20:21], v[66:67] op_sel_hi:[1,0,1]
	v_pk_fma_f32 v[172:173], v[12:13], s[20:21], v[66:67] op_sel_hi:[1,0,1] neg_lo:[0,0,1] neg_hi:[0,0,1]
	v_mov_b32_e32 v66, v170
	v_mov_b32_e32 v67, v173
	v_pk_add_f32 v[62:63], v[66:67], v[62:63]
	v_pk_mul_f32 v[66:67], v[124:125], s[38:39] op_sel:[1,0] op_sel_hi:[0,0]
	v_pk_fma_f32 v[174:175], v[10:11], s[6:7], v[66:67] op_sel_hi:[1,0,1]
	v_pk_fma_f32 v[176:177], v[10:11], s[6:7], v[66:67] op_sel_hi:[1,0,1] neg_lo:[0,0,1] neg_hi:[0,0,1]
	;; [unrolled: 6-line block ×5, first 2 shown]
	v_pk_mul_f32 v[192:193], v[92:93], s[42:43] op_sel:[1,0] op_sel_hi:[0,0]
	v_mov_b32_e32 v62, v186
	v_mov_b32_e32 v63, v189
	v_pk_fma_f32 v[190:191], v[14:15], s[26:27], v[192:193] op_sel_hi:[1,0,1]
	v_pk_fma_f32 v[192:193], v[14:15], s[26:27], v[192:193] op_sel_hi:[1,0,1] neg_lo:[0,0,1] neg_hi:[0,0,1]
	v_pk_add_f32 v[62:63], v[8:9], v[62:63]
	v_mov_b32_e32 v194, v190
	v_mov_b32_e32 v195, v193
	v_pk_mul_f32 v[196:197], v[94:95], s[38:39] op_sel:[1,0] op_sel_hi:[0,0]
	v_pk_add_f32 v[62:63], v[194:195], v[62:63]
	v_pk_fma_f32 v[194:195], v[12:13], s[6:7], v[196:197] op_sel_hi:[1,0,1]
	v_pk_fma_f32 v[196:197], v[12:13], s[6:7], v[196:197] op_sel_hi:[1,0,1] neg_lo:[0,0,1] neg_hi:[0,0,1]
	v_mov_b32_e32 v198, v194
	v_mov_b32_e32 v199, v197
	v_pk_mul_f32 v[200:201], v[124:125], s[40:41] op_sel:[1,0] op_sel_hi:[0,0]
	v_pk_add_f32 v[62:63], v[198:199], v[62:63]
	v_pk_fma_f32 v[198:199], v[10:11], s[18:19], v[200:201] op_sel_hi:[1,0,1]
	v_pk_fma_f32 v[200:201], v[10:11], s[18:19], v[200:201] op_sel_hi:[1,0,1] neg_lo:[0,0,1] neg_hi:[0,0,1]
	s_mov_b32 s44, 0x3e750f2a
	v_mov_b32_e32 v202, v198
	v_mov_b32_e32 v203, v201
	v_pk_mul_f32 v[204:205], v[150:151], s[44:45] op_sel:[1,0] op_sel_hi:[0,0]
	v_pk_add_f32 v[62:63], v[202:203], v[62:63]
	v_pk_fma_f32 v[202:203], v[22:23], s[30:31], v[204:205] op_sel_hi:[1,0,1]
	v_pk_fma_f32 v[204:205], v[22:23], s[30:31], v[204:205] op_sel_hi:[1,0,1] neg_lo:[0,0,1] neg_hi:[0,0,1]
	s_mov_b32 s42, 0x3f52af12
	v_mov_b32_e32 v206, v202
	v_mov_b32_e32 v207, v205
	v_pk_mul_f32 v[208:209], v[166:167], s[42:43] op_sel:[1,0] op_sel_hi:[0,0]
	v_pk_add_f32 v[62:63], v[206:207], v[62:63]
	v_pk_fma_f32 v[206:207], v[24:25], s[2:3], v[208:209] op_sel_hi:[1,0,1]
	v_pk_fma_f32 v[208:209], v[24:25], s[2:3], v[208:209] op_sel_hi:[1,0,1] neg_lo:[0,0,1] neg_hi:[0,0,1]
	v_mov_b32_e32 v214, v206
	v_mov_b32_e32 v215, v209
	v_pk_add_f32 v[62:63], v[214:215], v[62:63]
	s_and_saveexec_b64 s[40:41], s[0:1]
	s_cbranch_execz .LBB0_5
; %bb.4:
	v_pk_add_f32 v[48:49], v[8:9], v[48:49]
	v_mov_b32_e32 v87, v85
	v_pk_add_f32 v[48:49], v[48:49], v[50:51]
	v_mov_b32_e32 v83, v81
	;; [unrolled: 2-line block ×4, first 2 shown]
	v_pk_add_f32 v[48:49], v[48:49], v[68:69]
	v_mul_u32_u24_e32 v57, 26, v240
	v_pk_add_f32 v[48:49], v[48:49], v[70:71]
	v_mov_b32_e32 v129, v127
	v_pk_add_f32 v[48:49], v[48:49], v[72:73]
	v_or_b32_e32 v57, v57, v232
	v_pk_add_f32 v[26:27], v[48:49], v[26:27]
	v_mov_b32_e32 v133, v131
	v_pk_add_f32 v[26:27], v[26:27], v[40:41]
	v_pk_add_f32 v[40:41], v[8:9], v[86:87]
	;; [unrolled: 1-line block ×6, first 2 shown]
	v_lshlrev_b32_e32 v57, 3, v57
	v_pk_add_f32 v[40:41], v[88:89], v[40:41]
	v_pk_add_f32 v[26:27], v[26:27], v[46:47]
	;; [unrolled: 1-line block ×3, first 2 shown]
	v_mov_b32_e32 v137, v135
	v_pk_add_f32 v[40:41], v[132:133], v[40:41]
	v_mov_b32_e32 v163, v161
	ds_write2_b64 v57, v[26:27], v[40:41] offset1:2
	v_pk_add_f32 v[26:27], v[8:9], v[136:137]
	v_mov_b32_e32 v141, v139
	v_pk_add_f32 v[40:41], v[8:9], v[162:163]
	v_mov_b32_e32 v169, v165
	;; [unrolled: 2-line block ×10, first 2 shown]
	v_mov_b32_e32 v214, v91
	v_mov_b32_e32 v215, v90
	v_pk_add_f32 v[26:27], v[158:159], v[26:27]
	v_pk_add_f32 v[40:41], v[184:185], v[40:41]
	v_mov_b32_e32 v90, v93
	v_mov_b32_e32 v91, v92
	ds_write2_b64 v57, v[26:27], v[40:41] offset0:4 offset1:6
	v_pk_mul_f32 v[40:41], v[214:215], s[28:29] op_sel_hi:[1,0]
	v_pk_mul_f32 v[42:43], v[90:91], s[36:37] op_sel_hi:[1,0]
	v_pk_fma_f32 v[52:53], v[20:21], s[26:27], v[40:41] op_sel_hi:[1,0,1] neg_lo:[0,0,1] neg_hi:[0,0,1]
	v_pk_fma_f32 v[40:41], v[20:21], s[26:27], v[40:41] op_sel_hi:[1,0,1]
	v_mov_b32_e32 v92, v95
	v_mov_b32_e32 v93, v94
	;; [unrolled: 1-line block ×4, first 2 shown]
	v_pk_fma_f32 v[68:69], v[14:15], s[18:19], v[42:43] op_sel_hi:[1,0,1] neg_lo:[0,0,1] neg_hi:[0,0,1]
	v_pk_fma_f32 v[42:43], v[14:15], s[18:19], v[42:43] op_sel_hi:[1,0,1]
	v_pk_mul_f32 v[44:45], v[92:93], s[24:25] op_sel_hi:[1,0]
	v_pk_add_f32 v[54:55], v[8:9], v[54:55]
	v_mov_b32_e32 v70, v68
	v_mov_b32_e32 v71, v43
	;; [unrolled: 1-line block ×4, first 2 shown]
	v_pk_add_f32 v[54:55], v[70:71], v[54:55]
	v_pk_fma_f32 v[70:71], v[12:13], s[2:3], v[44:45] op_sel_hi:[1,0,1] neg_lo:[0,0,1] neg_hi:[0,0,1]
	v_pk_fma_f32 v[44:45], v[12:13], s[2:3], v[44:45] op_sel_hi:[1,0,1]
	v_pk_mul_f32 v[46:47], v[94:95], s[44:45] op_sel_hi:[1,0]
	v_mov_b32_e32 v72, v70
	v_mov_b32_e32 v73, v45
	;; [unrolled: 1-line block ×5, first 2 shown]
	v_pk_add_f32 v[54:55], v[72:73], v[54:55]
	v_pk_fma_f32 v[72:73], v[10:11], s[30:31], v[46:47] op_sel_hi:[1,0,1] neg_lo:[0,0,1] neg_hi:[0,0,1]
	v_pk_fma_f32 v[46:47], v[10:11], s[30:31], v[46:47] op_sel_hi:[1,0,1]
	v_pk_add_f32 v[26:27], v[8:9], v[188:189]
	v_mov_b32_e32 v193, v191
	v_pk_mul_f32 v[48:49], v[124:125], s[38:39] op_sel_hi:[1,0]
	v_mov_b32_e32 v74, v72
	v_mov_b32_e32 v75, v47
	;; [unrolled: 1-line block ×4, first 2 shown]
	v_pk_add_f32 v[26:27], v[192:193], v[26:27]
	v_mov_b32_e32 v197, v195
	v_pk_add_f32 v[54:55], v[74:75], v[54:55]
	v_pk_fma_f32 v[74:75], v[22:23], s[6:7], v[48:49] op_sel_hi:[1,0,1] neg_lo:[0,0,1] neg_hi:[0,0,1]
	v_pk_fma_f32 v[48:49], v[22:23], s[6:7], v[48:49] op_sel_hi:[1,0,1]
	v_pk_add_f32 v[26:27], v[196:197], v[26:27]
	v_mov_b32_e32 v201, v199
	v_pk_mul_f32 v[50:51], v[150:151], s[22:23] op_sel_hi:[1,0]
	v_mov_b32_e32 v76, v74
	v_mov_b32_e32 v77, v49
	v_pk_add_f32 v[26:27], v[200:201], v[26:27]
	v_mov_b32_e32 v205, v203
	v_pk_add_f32 v[54:55], v[76:77], v[54:55]
	v_pk_fma_f32 v[76:77], v[24:25], s[20:21], v[50:51] op_sel_hi:[1,0,1] neg_lo:[0,0,1] neg_hi:[0,0,1]
	v_pk_fma_f32 v[50:51], v[24:25], s[20:21], v[50:51] op_sel_hi:[1,0,1]
	v_pk_add_f32 v[26:27], v[204:205], v[26:27]
	v_mov_b32_e32 v209, v207
	v_mov_b32_e32 v78, v76
	;; [unrolled: 1-line block ×3, first 2 shown]
	v_pk_add_f32 v[26:27], v[208:209], v[26:27]
	v_pk_add_f32 v[54:55], v[78:79], v[54:55]
	ds_write2_b64 v57, v[26:27], v[54:55] offset0:8 offset1:10
	v_pk_mul_f32 v[26:27], v[214:215], s[34:35] op_sel_hi:[1,0]
	v_pk_mul_f32 v[78:79], v[90:91], s[38:39] op_sel_hi:[1,0]
	v_pk_fma_f32 v[54:55], v[20:21], s[30:31], v[26:27] op_sel_hi:[1,0,1] neg_lo:[0,0,1] neg_hi:[0,0,1]
	v_pk_fma_f32 v[20:21], v[20:21], s[30:31], v[26:27] op_sel_hi:[1,0,1]
	v_mov_b32_e32 v26, v54
	v_mov_b32_e32 v27, v21
	v_pk_fma_f32 v[80:81], v[14:15], s[6:7], v[78:79] op_sel_hi:[1,0,1] neg_lo:[0,0,1] neg_hi:[0,0,1]
	v_pk_fma_f32 v[14:15], v[14:15], s[6:7], v[78:79] op_sel_hi:[1,0,1]
	v_pk_add_f32 v[26:27], v[8:9], v[26:27]
	v_mov_b32_e32 v78, v80
	v_mov_b32_e32 v79, v15
	v_pk_add_f32 v[26:27], v[78:79], v[26:27]
	v_pk_mul_f32 v[78:79], v[92:93], s[28:29] op_sel_hi:[1,0]
	v_mov_b32_e32 v21, v55
	v_pk_fma_f32 v[82:83], v[12:13], s[26:27], v[78:79] op_sel_hi:[1,0,1] neg_lo:[0,0,1] neg_hi:[0,0,1]
	v_pk_fma_f32 v[12:13], v[12:13], s[26:27], v[78:79] op_sel_hi:[1,0,1]
	v_mov_b32_e32 v78, v82
	v_mov_b32_e32 v79, v13
	v_pk_add_f32 v[26:27], v[78:79], v[26:27]
	v_pk_mul_f32 v[78:79], v[94:95], s[42:43] op_sel_hi:[1,0]
	v_mov_b32_e32 v41, v53
	v_pk_fma_f32 v[84:85], v[10:11], s[2:3], v[78:79] op_sel_hi:[1,0,1] neg_lo:[0,0,1] neg_hi:[0,0,1]
	v_pk_fma_f32 v[10:11], v[10:11], s[2:3], v[78:79] op_sel_hi:[1,0,1]
	v_mov_b32_e32 v78, v84
	v_mov_b32_e32 v79, v11
	v_pk_add_f32 v[26:27], v[78:79], v[26:27]
	v_pk_mul_f32 v[78:79], v[124:125], s[22:23] op_sel_hi:[1,0]
	v_pk_add_f32 v[20:21], v[8:9], v[20:21]
	v_pk_fma_f32 v[86:87], v[22:23], s[20:21], v[78:79] op_sel_hi:[1,0,1] neg_lo:[0,0,1] neg_hi:[0,0,1]
	v_pk_fma_f32 v[22:23], v[22:23], s[20:21], v[78:79] op_sel_hi:[1,0,1]
	v_mov_b32_e32 v15, v81
	v_pk_add_f32 v[8:9], v[8:9], v[40:41]
	v_mov_b32_e32 v43, v69
	v_mov_b32_e32 v78, v86
	v_mov_b32_e32 v79, v23
	v_pk_add_f32 v[14:15], v[14:15], v[20:21]
	v_mov_b32_e32 v13, v83
	v_pk_add_f32 v[8:9], v[42:43], v[8:9]
	v_mov_b32_e32 v45, v71
	v_pk_add_f32 v[26:27], v[78:79], v[26:27]
	v_pk_mul_f32 v[78:79], v[150:151], s[36:37] op_sel_hi:[1,0]
	v_pk_add_f32 v[12:13], v[12:13], v[14:15]
	v_mov_b32_e32 v11, v85
	v_pk_add_f32 v[8:9], v[44:45], v[8:9]
	v_mov_b32_e32 v47, v73
	v_pk_fma_f32 v[88:89], v[24:25], s[18:19], v[78:79] op_sel_hi:[1,0,1] neg_lo:[0,0,1] neg_hi:[0,0,1]
	v_pk_fma_f32 v[24:25], v[24:25], s[18:19], v[78:79] op_sel_hi:[1,0,1]
	v_pk_add_f32 v[10:11], v[10:11], v[12:13]
	v_mov_b32_e32 v23, v87
	v_pk_add_f32 v[8:9], v[46:47], v[8:9]
	v_mov_b32_e32 v49, v75
	v_mov_b32_e32 v78, v88
	v_mov_b32_e32 v79, v25
	v_pk_add_f32 v[10:11], v[22:23], v[10:11]
	v_mov_b32_e32 v25, v89
	v_pk_add_f32 v[8:9], v[48:49], v[8:9]
	v_mov_b32_e32 v51, v77
	v_pk_add_f32 v[26:27], v[78:79], v[26:27]
	v_pk_add_f32 v[10:11], v[24:25], v[10:11]
	;; [unrolled: 1-line block ×3, first 2 shown]
	ds_write2_b64 v57, v[26:27], v[10:11] offset0:12 offset1:14
	ds_write2_b64 v57, v[8:9], v[62:63] offset0:16 offset1:18
	;; [unrolled: 1-line block ×3, first 2 shown]
	ds_write_b64 v57, v[122:123] offset:192
.LBB0_5:
	s_or_b64 exec, exec, s[40:41]
	v_add_u32_e32 v8, 0x600, v96
	s_waitcnt lgkmcnt(0)
	s_barrier
	ds_read2_b64 v[40:43], v8 offset0:42 offset1:198
	v_add_u32_e32 v8, 0x1800, v96
	ds_read2_b64 v[52:55], v8 offset0:12 offset1:129
	v_add_u32_e32 v8, 0xc00, v96
	ds_read2_b64 v[48:51], v96 offset1:117
	ds_read2_b64 v[44:47], v8 offset0:123 offset1:240
	ds_read_b64 v[68:69], v96 offset:8112
	v_cmp_lt_u16_e64 s[2:3], 38, v98
	v_cmp_gt_u16_e32 vcc, 39, v98
	s_and_saveexec_b64 s[6:7], vcc
	s_cbranch_execz .LBB0_7
; %bb.6:
	ds_read_b64 v[62:63], v96 offset:2808
	ds_read_b64 v[66:67], v96 offset:5928
	;; [unrolled: 1-line block ×3, first 2 shown]
.LBB0_7:
	s_or_b64 exec, exec, s[6:7]
	s_movk_i32 s6, 0x4f
	v_mul_lo_u16_sdwa v8, v98, s6 dst_sel:DWORD dst_unused:UNUSED_PAD src0_sel:BYTE_0 src1_sel:DWORD
	v_lshrrev_b16_e32 v57, 11, v8
	v_mul_lo_u16_e32 v8, 26, v57
	v_sub_u16_e32 v8, v98, v8
	v_and_b32_e32 v72, 0xff, v8
	v_mul_lo_u16_sdwa v8, v56, s6 dst_sel:DWORD dst_unused:UNUSED_PAD src0_sel:BYTE_0 src1_sel:DWORD
	v_lshrrev_b16_e32 v73, 11, v8
	v_mul_lo_u16_e32 v8, 26, v73
	v_sub_u16_e32 v8, v56, v8
	v_lshlrev_b32_e32 v20, 4, v72
	v_and_b32_e32 v74, 0xff, v8
	s_movk_i32 s6, 0x4ec5
	v_lshlrev_b32_e32 v21, 4, v74
	global_load_dwordx4 v[12:15], v20, s[14:15] offset:192
	global_load_dwordx4 v[8:11], v21, s[14:15] offset:192
	v_mul_u32_u24_sdwa v20, v60, s6 dst_sel:DWORD dst_unused:UNUSED_PAD src0_sel:WORD_0 src1_sel:DWORD
	v_lshrrev_b32_e32 v82, 19, v20
	v_mul_lo_u16_e32 v20, 26, v82
	v_sub_u16_e32 v83, v60, v20
	v_lshlrev_b16_e32 v20, 4, v83
	v_mov_b32_e32 v21, 0
	v_lshl_add_u64 v[60:61], s[14:15], 0, v[20:21]
	v_mul_u32_u24_sdwa v20, v58, s6 dst_sel:DWORD dst_unused:UNUSED_PAD src0_sel:WORD_0 src1_sel:DWORD
	v_lshrrev_b32_e32 v233, 19, v20
	v_mul_lo_u16_e32 v20, 26, v233
	v_sub_u16_e32 v236, v58, v20
	v_lshlrev_b16_e32 v20, 4, v236
	v_lshl_add_u64 v[70:71], s[14:15], 0, v[20:21]
	global_load_dwordx4 v[20:23], v[70:71], off offset:192
	global_load_dwordx4 v[24:27], v[60:61], off offset:192
	v_mul_u32_u24_e32 v60, 0x4e, v73
	v_mul_u32_u24_e32 v57, 0x4e, v57
	v_add_lshl_u32 v237, v60, v74, 3
	v_add_lshl_u32 v238, v57, v72, 3
	s_mov_b32 s6, 0x3f5db3d7
	s_movk_i32 s18, 0x4e
	s_waitcnt lgkmcnt(0)
	s_barrier
	s_waitcnt vmcnt(3)
	v_pk_mul_f32 v[60:61], v[42:43], v[12:13] op_sel:[0,1]
	v_mov_b32_e32 v70, v15
	s_waitcnt vmcnt(2)
	v_pk_mul_f32 v[72:73], v[44:45], v[8:9] op_sel:[0,1]
	v_mov_b32_e32 v74, v11
	v_pk_fma_f32 v[80:81], v[42:43], v[12:13], v[60:61] op_sel:[0,0,1] op_sel_hi:[1,1,0] neg_lo:[0,0,1] neg_hi:[0,0,1]
	v_pk_fma_f32 v[42:43], v[42:43], v[12:13], v[60:61] op_sel:[0,0,1] op_sel_hi:[1,0,0]
	v_pk_mul_f32 v[60:61], v[52:53], v[70:71] op_sel_hi:[1,0]
	v_pk_fma_f32 v[70:71], v[44:45], v[8:9], v[72:73] op_sel:[0,0,1] op_sel_hi:[1,1,0] neg_lo:[0,0,1] neg_hi:[0,0,1]
	v_pk_fma_f32 v[44:45], v[44:45], v[8:9], v[72:73] op_sel:[0,0,1] op_sel_hi:[1,0,0]
	v_pk_mul_f32 v[72:73], v[54:55], v[74:75] op_sel_hi:[1,0]
	v_mov_b32_e32 v81, v43
	v_mov_b32_e32 v71, v45
	s_waitcnt vmcnt(1)
	v_pk_mul_f32 v[76:77], v[66:67], v[20:21] op_sel_hi:[0,1]
	v_pk_mul_f32 v[78:79], v[64:65], v[22:23] op_sel_hi:[0,1]
	v_pk_fma_f32 v[74:75], v[66:67], v[20:21], v[76:77] op_sel:[1,0,1] op_sel_hi:[1,1,0]
	v_pk_fma_f32 v[66:67], v[66:67], v[20:21], v[76:77] op_sel:[1,0,1] op_sel_hi:[1,1,0] neg_lo:[1,0,0] neg_hi:[1,0,0]
	v_pk_fma_f32 v[76:77], v[64:65], v[22:23], v[78:79] op_sel:[1,0,1] op_sel_hi:[1,1,0]
	v_pk_fma_f32 v[64:65], v[64:65], v[22:23], v[78:79] op_sel:[1,0,1] op_sel_hi:[1,1,0] neg_lo:[1,0,0] neg_hi:[1,0,0]
	v_pk_fma_f32 v[78:79], v[52:53], v[14:15], v[60:61] op_sel:[0,0,1] op_sel_hi:[1,1,0] neg_lo:[0,0,1] neg_hi:[0,0,1]
	v_pk_fma_f32 v[52:53], v[52:53], v[14:15], v[60:61] op_sel:[0,0,1] op_sel_hi:[1,0,0]
	v_pk_fma_f32 v[60:61], v[54:55], v[10:11], v[72:73] op_sel:[0,0,1] op_sel_hi:[1,1,0] neg_lo:[0,0,1] neg_hi:[0,0,1]
	v_pk_fma_f32 v[54:55], v[54:55], v[10:11], v[72:73] op_sel:[0,0,1] op_sel_hi:[1,0,0]
	v_mov_b32_e32 v75, v67
	v_mov_b32_e32 v77, v65
	v_mov_b32_e32 v42, v67
	v_mov_b32_e32 v43, v74
	v_mov_b32_e32 v44, v65
	v_mov_b32_e32 v45, v76
	v_mov_b32_e32 v79, v53
	v_mov_b32_e32 v61, v55
	v_pk_add_f32 v[54:55], v[50:51], v[70:71]
	v_pk_add_f32 v[64:65], v[42:43], v[44:45]
	v_pk_add_f32 v[66:67], v[74:75], v[76:77] neg_lo:[0,1] neg_hi:[0,1]
	v_pk_add_f32 v[72:73], v[80:81], v[78:79]
	v_pk_add_f32 v[74:75], v[80:81], v[78:79] neg_lo:[0,1] neg_hi:[0,1]
	v_pk_add_f32 v[52:53], v[48:49], v[80:81]
	v_pk_add_f32 v[54:55], v[54:55], v[60:61]
	;; [unrolled: 1-line block ×3, first 2 shown]
	v_pk_add_f32 v[60:61], v[70:71], v[60:61] neg_lo:[0,1] neg_hi:[0,1]
	v_pk_fma_f32 v[64:65], v[64:65], 0.5, v[62:63] op_sel_hi:[1,0,1] neg_lo:[1,0,0] neg_hi:[1,0,0]
	v_pk_fma_f32 v[48:49], v[72:73], 0.5, v[48:49] op_sel_hi:[1,0,1] neg_lo:[1,0,0] neg_hi:[1,0,0]
	v_pk_mul_f32 v[70:71], v[74:75], s[6:7] op_sel_hi:[1,0]
	v_pk_fma_f32 v[50:51], v[76:77], 0.5, v[50:51] op_sel_hi:[1,0,1] neg_lo:[1,0,0] neg_hi:[1,0,0]
	v_pk_mul_f32 v[60:61], v[60:61], s[6:7] op_sel_hi:[1,0]
	v_pk_fma_f32 v[88:89], v[66:67], s[6:7], v[64:65] op_sel_hi:[1,0,1] neg_lo:[1,0,0] neg_hi:[1,0,0]
	v_pk_fma_f32 v[90:91], v[66:67], s[6:7], v[64:65] op_sel_hi:[1,0,1]
	v_pk_add_f32 v[64:65], v[48:49], v[70:71] op_sel:[0,1] op_sel_hi:[1,0]
	v_pk_add_f32 v[48:49], v[48:49], v[70:71] op_sel:[0,1] op_sel_hi:[1,0] neg_lo:[0,1] neg_hi:[0,1]
	v_pk_add_f32 v[52:53], v[52:53], v[78:79]
	v_pk_add_f32 v[66:67], v[50:51], v[60:61] op_sel:[0,1] op_sel_hi:[1,0]
	v_pk_add_f32 v[50:51], v[50:51], v[60:61] op_sel:[0,1] op_sel_hi:[1,0] neg_lo:[0,1] neg_hi:[0,1]
	v_mov_b32_e32 v60, v64
	v_mov_b32_e32 v61, v49
	;; [unrolled: 1-line block ×3, first 2 shown]
	ds_write2_b64 v238, v[52:53], v[60:61] offset1:26
	ds_write_b64 v238, v[48:49] offset:416
	v_mov_b32_e32 v48, v66
	v_mov_b32_e32 v49, v51
	ds_write2_b64 v237, v[54:55], v[48:49] offset1:26
	v_mad_legacy_u16 v48, v82, s18, v83
	v_mov_b32_e32 v51, v67
	v_lshlrev_b32_e32 v239, 3, v48
	s_waitcnt vmcnt(0)
	v_pk_mul_f32 v[48:49], v[46:47], v[24:25] op_sel:[0,1]
	ds_write_b64 v237, v[50:51] offset:416
	v_pk_fma_f32 v[50:51], v[46:47], v[24:25], v[48:49] op_sel:[0,0,1] op_sel_hi:[1,1,0] neg_lo:[0,0,1] neg_hi:[0,0,1]
	v_pk_fma_f32 v[46:47], v[46:47], v[24:25], v[48:49] op_sel:[0,0,1] op_sel_hi:[1,0,0]
	s_nop 0
	v_mov_b32_e32 v46, v27
	v_mov_b32_e32 v51, v47
	v_pk_mul_f32 v[46:47], v[68:69], v[46:47] op_sel_hi:[1,0]
	s_nop 0
	v_pk_fma_f32 v[48:49], v[68:69], v[26:27], v[46:47] op_sel:[0,0,1] op_sel_hi:[1,1,0] neg_lo:[0,0,1] neg_hi:[0,0,1]
	v_pk_fma_f32 v[46:47], v[68:69], v[26:27], v[46:47] op_sel:[0,0,1] op_sel_hi:[1,0,0]
	s_nop 0
	v_mov_b32_e32 v49, v47
	v_pk_add_f32 v[46:47], v[50:51], v[48:49]
	v_pk_add_f32 v[52:53], v[50:51], v[48:49] neg_lo:[0,1] neg_hi:[0,1]
	v_pk_fma_f32 v[46:47], v[46:47], 0.5, v[40:41] op_sel_hi:[1,0,1] neg_lo:[1,0,0] neg_hi:[1,0,0]
	v_pk_mul_f32 v[52:53], v[52:53], s[6:7] op_sel_hi:[1,0]
	v_pk_add_f32 v[40:41], v[40:41], v[50:51]
	v_pk_add_f32 v[54:55], v[46:47], v[52:53] op_sel:[0,1] op_sel_hi:[1,0] neg_lo:[0,1] neg_hi:[0,1]
	v_pk_add_f32 v[46:47], v[46:47], v[52:53] op_sel:[0,1] op_sel_hi:[1,0]
	v_pk_add_f32 v[40:41], v[40:41], v[48:49]
	v_mov_b32_e32 v48, v46
	v_mov_b32_e32 v49, v55
	;; [unrolled: 1-line block ×3, first 2 shown]
	ds_write2_b64 v239, v[40:41], v[48:49] offset1:26
	ds_write_b64 v239, v[54:55] offset:416
	s_and_saveexec_b64 s[6:7], vcc
	s_cbranch_execz .LBB0_9
; %bb.8:
	v_mad_legacy_u16 v40, v233, s18, v236
	v_lshlrev_b32_e32 v46, 3, v40
	v_pk_add_f32 v[40:41], v[62:63], v[42:43]
	v_mov_b32_e32 v42, v90
	v_pk_add_f32 v[40:41], v[40:41], v[44:45]
	v_mov_b32_e32 v43, v89
	ds_write2_b64 v46, v[40:41], v[42:43] offset1:26
	v_mov_b32_e32 v40, v88
	v_mov_b32_e32 v41, v91
	ds_write_b64 v46, v[40:41] offset:416
.LBB0_9:
	s_or_b64 exec, exec, s[6:7]
	s_movk_i32 s6, 0xffb2
	s_mov_b32 s7, -1
	v_lshl_add_u64 v[40:41], v[98:99], 0, s[6:7]
	v_cmp_gt_u16_e64 s[6:7], s18, v98
	s_waitcnt lgkmcnt(0)
	s_barrier
	v_cndmask_b32_e64 v81, v41, 0, s[6:7]
	v_cndmask_b32_e64 v80, v40, v98, s[6:7]
	v_lshlrev_b64 v[40:41], 5, v[80:81]
	v_lshl_add_u64 v[48:49], s[14:15], 0, v[40:41]
	global_load_dwordx4 v[44:47], v[48:49], off offset:608
	global_load_dwordx4 v[40:43], v[48:49], off offset:624
	v_lshrrev_b16_e32 v48, 1, v56
	v_and_b32_e32 v48, 0x7f, v48
	v_mul_lo_u16_e32 v48, 0xd3, v48
	v_lshrrev_b16_e32 v57, 13, v48
	v_mul_lo_u16_e32 v48, 0x4e, v57
	v_sub_u16_e32 v48, v56, v48
	v_and_b32_e32 v100, 0xff, v48
	v_lshlrev_b32_e32 v60, 5, v100
	global_load_dwordx4 v[52:55], v60, s[14:15] offset:608
	global_load_dwordx4 v[48:51], v60, s[14:15] offset:624
	v_add_u32_e32 v64, 0x400, v96
	v_add_u32_e32 v72, 0x1400, v96
	;; [unrolled: 1-line block ×3, first 2 shown]
	ds_read2_b64 v[60:63], v96 offset1:117
	v_add_u32_e32 v101, 0xc00, v96
	ds_read2_b64 v[64:67], v64 offset0:106 offset1:223
	ds_read2_b64 v[68:71], v101 offset0:84 offset1:201
	;; [unrolled: 1-line block ×4, first 2 shown]
	s_movk_i32 s6, 0x4d
	v_mov_b32_e32 v81, 0x186
	v_cmp_lt_u16_e64 s[6:7], s6, v98
	s_mov_b32 s18, 0x3f737871
	s_mov_b32 s22, 0x3f167918
	v_cndmask_b32_e64 v81, 0, v81, s[6:7]
	v_add_lshl_u32 v97, v80, v81, 3
	s_mov_b32 s20, 0x3e9e377a
	s_waitcnt lgkmcnt(0)
	s_barrier
	v_mul_u32_u24_e32 v57, 0x186, v57
	v_add_lshl_u32 v111, v57, v100, 3
	v_add_u32_e32 v57, 0x600, v96
	v_lshlrev_b32_e32 v56, 1, v56
	s_waitcnt vmcnt(3)
	v_pk_mul_f32 v[80:81], v[64:65], v[44:45] op_sel:[0,1]
	v_mov_b32_e32 v82, v47
	s_waitcnt vmcnt(2)
	v_pk_mul_f32 v[84:85], v[72:73], v[40:41] op_sel:[0,1]
	v_mov_b32_e32 v86, v43
	v_pk_fma_f32 v[94:95], v[64:65], v[44:45], v[80:81] op_sel:[0,0,1] op_sel_hi:[1,1,0] neg_lo:[0,0,1] neg_hi:[0,0,1]
	v_pk_fma_f32 v[64:65], v[64:65], v[44:45], v[80:81] op_sel:[0,0,1] op_sel_hi:[1,0,0]
	v_pk_mul_f32 v[80:81], v[68:69], v[82:83] op_sel_hi:[1,0]
	v_pk_fma_f32 v[82:83], v[72:73], v[40:41], v[84:85] op_sel:[0,0,1] op_sel_hi:[1,1,0] neg_lo:[0,0,1] neg_hi:[0,0,1]
	v_pk_fma_f32 v[72:73], v[72:73], v[40:41], v[84:85] op_sel:[0,0,1] op_sel_hi:[1,0,0]
	v_pk_mul_f32 v[84:85], v[76:77], v[86:87] op_sel_hi:[1,0]
	v_mov_b32_e32 v95, v65
	v_pk_fma_f32 v[64:65], v[68:69], v[46:47], v[80:81] op_sel:[0,0,1] op_sel_hi:[1,1,0] neg_lo:[0,0,1] neg_hi:[0,0,1]
	v_pk_fma_f32 v[68:69], v[68:69], v[46:47], v[80:81] op_sel:[0,0,1] op_sel_hi:[1,0,0]
	v_mov_b32_e32 v83, v73
	v_pk_fma_f32 v[72:73], v[76:77], v[42:43], v[84:85] op_sel:[0,0,1] op_sel_hi:[1,1,0] neg_lo:[0,0,1] neg_hi:[0,0,1]
	v_pk_fma_f32 v[76:77], v[76:77], v[42:43], v[84:85] op_sel:[0,0,1] op_sel_hi:[1,0,0]
	s_waitcnt vmcnt(1)
	v_pk_mul_f32 v[80:81], v[66:67], v[52:53] op_sel:[0,1]
	s_waitcnt vmcnt(0)
	v_pk_mul_f32 v[84:85], v[74:75], v[48:49] op_sel:[0,1]
	v_mov_b32_e32 v65, v69
	v_mov_b32_e32 v73, v77
	v_pk_add_f32 v[86:87], v[60:61], v[94:95]
	v_pk_fma_f32 v[124:125], v[66:67], v[52:53], v[80:81] op_sel:[0,0,1] op_sel_hi:[1,1,0] neg_lo:[0,0,1] neg_hi:[0,0,1]
	v_pk_fma_f32 v[66:67], v[66:67], v[52:53], v[80:81] op_sel:[0,0,1] op_sel_hi:[1,0,0]
	v_pk_fma_f32 v[80:81], v[74:75], v[48:49], v[84:85] op_sel:[0,0,1] op_sel_hi:[1,1,0] neg_lo:[0,0,1] neg_hi:[0,0,1]
	v_pk_fma_f32 v[74:75], v[74:75], v[48:49], v[84:85] op_sel:[0,0,1] op_sel_hi:[1,0,0]
	v_pk_add_f32 v[84:85], v[86:87], v[64:65]
	v_pk_add_f32 v[86:87], v[64:65], v[82:83]
	v_pk_add_f32 v[128:129], v[94:95], v[72:73] neg_lo:[0,1] neg_hi:[0,1]
	v_pk_fma_f32 v[86:87], v[86:87], 0.5, v[60:61] op_sel_hi:[1,0,1] neg_lo:[1,0,0] neg_hi:[1,0,0]
	v_pk_mul_f32 v[130:131], v[128:129], s[18:19] op_sel_hi:[1,0]
	v_pk_add_f32 v[132:133], v[64:65], v[82:83] neg_lo:[0,1] neg_hi:[0,1]
	v_pk_add_f32 v[136:137], v[94:95], v[64:65] neg_lo:[0,1] neg_hi:[0,1]
	;; [unrolled: 1-line block ×3, first 2 shown]
	v_mov_b32_e32 v68, v55
	v_mov_b32_e32 v76, v51
	v_pk_mul_f32 v[134:135], v[132:133], s[22:23] op_sel_hi:[1,0]
	v_pk_add_f32 v[136:137], v[136:137], v[138:139]
	v_pk_add_f32 v[138:139], v[86:87], v[130:131] op_sel:[0,1] op_sel_hi:[1,0]
	v_pk_add_f32 v[86:87], v[86:87], v[130:131] op_sel:[0,1] op_sel_hi:[1,0] neg_lo:[0,1] neg_hi:[0,1]
	v_pk_mul_f32 v[68:69], v[70:71], v[68:69] op_sel_hi:[1,0]
	v_pk_mul_f32 v[76:77], v[78:79], v[76:77] op_sel_hi:[1,0]
	v_pk_add_f32 v[86:87], v[86:87], v[134:135] op_sel:[0,1] op_sel_hi:[1,0] neg_lo:[0,1] neg_hi:[0,1]
	v_pk_add_f32 v[130:131], v[138:139], v[134:135] op_sel:[0,1] op_sel_hi:[1,0]
	v_mov_b32_e32 v125, v67
	v_pk_fma_f32 v[66:67], v[70:71], v[54:55], v[68:69] op_sel:[0,0,1] op_sel_hi:[1,1,0] neg_lo:[0,0,1] neg_hi:[0,0,1]
	v_pk_fma_f32 v[68:69], v[70:71], v[54:55], v[68:69] op_sel:[0,0,1] op_sel_hi:[1,0,0]
	v_mov_b32_e32 v81, v75
	v_pk_fma_f32 v[70:71], v[78:79], v[50:51], v[76:77] op_sel:[0,0,1] op_sel_hi:[1,1,0] neg_lo:[0,0,1] neg_hi:[0,0,1]
	v_pk_fma_f32 v[74:75], v[78:79], v[50:51], v[76:77] op_sel:[0,0,1] op_sel_hi:[1,0,0]
	v_pk_add_f32 v[76:77], v[84:85], v[82:83]
	v_mov_b32_e32 v134, v130
	v_mov_b32_e32 v135, v87
	;; [unrolled: 1-line block ×3, first 2 shown]
	v_pk_add_f32 v[68:69], v[76:77], v[72:73]
	v_pk_fma_f32 v[134:135], v[136:137], s[20:21], v[134:135] op_sel_hi:[1,0,1]
	ds_write2_b64 v97, v[68:69], v[134:135] offset1:78
	v_pk_add_f32 v[68:69], v[94:95], v[72:73]
	v_pk_add_f32 v[64:65], v[64:65], v[94:95] neg_lo:[0,1] neg_hi:[0,1]
	v_pk_fma_f32 v[60:61], v[68:69], 0.5, v[60:61] op_sel_hi:[1,0,1] neg_lo:[1,0,0] neg_hi:[1,0,0]
	v_pk_add_f32 v[68:69], v[82:83], v[72:73] neg_lo:[0,1] neg_hi:[0,1]
	v_pk_mul_f32 v[72:73], v[128:129], s[22:23] op_sel_hi:[1,0]
	v_pk_add_f32 v[64:65], v[64:65], v[68:69]
	v_pk_mul_f32 v[68:69], v[132:133], s[18:19] op_sel_hi:[1,0]
	v_mov_b32_e32 v71, v75
	v_pk_add_f32 v[82:83], v[60:61], v[68:69] op_sel:[0,1] op_sel_hi:[1,0] neg_lo:[0,1] neg_hi:[0,1]
	v_pk_add_f32 v[60:61], v[60:61], v[68:69] op_sel:[0,1] op_sel_hi:[1,0]
	v_pk_add_f32 v[68:69], v[82:83], v[72:73] op_sel:[0,1] op_sel_hi:[1,0]
	v_pk_add_f32 v[60:61], v[60:61], v[72:73] op_sel:[0,1] op_sel_hi:[1,0] neg_lo:[0,1] neg_hi:[0,1]
	v_mov_b32_e32 v72, v68
	v_mov_b32_e32 v73, v61
	;; [unrolled: 1-line block ×3, first 2 shown]
	v_pk_add_f32 v[74:75], v[66:67], v[80:81]
	v_pk_fma_f32 v[72:73], v[64:65], s[20:21], v[72:73] op_sel_hi:[1,0,1]
	v_pk_fma_f32 v[60:61], v[64:65], s[20:21], v[60:61] op_sel_hi:[1,0,1]
	v_mov_b32_e32 v87, v131
	v_pk_add_f32 v[76:77], v[124:125], v[70:71] neg_lo:[0,1] neg_hi:[0,1]
	v_pk_add_f32 v[84:85], v[124:125], v[66:67] neg_lo:[0,1] neg_hi:[0,1]
	;; [unrolled: 1-line block ×3, first 2 shown]
	v_pk_fma_f32 v[74:75], v[74:75], 0.5, v[62:63] op_sel_hi:[1,0,1] neg_lo:[1,0,0] neg_hi:[1,0,0]
	ds_write2_b64 v97, v[72:73], v[60:61] offset0:156 offset1:234
	v_pk_fma_f32 v[60:61], v[136:137], s[20:21], v[86:87] op_sel_hi:[1,0,1]
	v_pk_add_f32 v[78:79], v[66:67], v[80:81] neg_lo:[0,1] neg_hi:[0,1]
	v_pk_add_f32 v[84:85], v[84:85], v[92:93]
	v_pk_fma_f32 v[92:93], v[76:77], s[18:19], v[74:75] op_sel:[1,0,0] op_sel_hi:[0,0,1] neg_lo:[1,0,0] neg_hi:[1,0,0]
	v_pk_fma_f32 v[74:75], v[76:77], s[18:19], v[74:75] op_sel:[1,0,0] op_sel_hi:[0,0,1]
	ds_write_b64 v97, v[60:61] offset:2496
	v_pk_add_f32 v[60:61], v[62:63], v[124:125]
	v_pk_fma_f32 v[74:75], v[78:79], s[22:23], v[74:75] op_sel:[1,0,0] op_sel_hi:[0,0,1]
	v_pk_fma_f32 v[126:127], v[78:79], s[22:23], v[92:93] op_sel:[1,0,0] op_sel_hi:[0,0,1] neg_lo:[1,0,0] neg_hi:[1,0,0]
	v_pk_add_f32 v[60:61], v[60:61], v[66:67]
	v_mov_b32_e32 v93, v75
	v_pk_add_f32 v[60:61], v[60:61], v[80:81]
	v_mov_b32_e32 v75, v127
	v_pk_add_f32 v[60:61], v[60:61], v[70:71]
	v_pk_fma_f32 v[64:65], v[84:85], s[20:21], v[74:75] op_sel_hi:[1,0,1]
	ds_write2_b64 v111, v[60:61], v[64:65] offset1:78
	v_pk_add_f32 v[60:61], v[124:125], v[70:71]
	v_pk_add_f32 v[64:65], v[80:81], v[70:71] neg_lo:[0,1] neg_hi:[0,1]
	v_pk_fma_f32 v[60:61], v[60:61], 0.5, v[62:63] op_sel_hi:[1,0,1] neg_lo:[1,0,0] neg_hi:[1,0,0]
	v_pk_add_f32 v[62:63], v[66:67], v[124:125] neg_lo:[0,1] neg_hi:[0,1]
	v_mov_b32_e32 v92, v126
	v_pk_add_f32 v[62:63], v[62:63], v[64:65]
	v_pk_fma_f32 v[64:65], v[78:79], s[18:19], v[60:61] op_sel:[1,0,0] op_sel_hi:[0,0,1] neg_lo:[1,0,0] neg_hi:[1,0,0]
	v_pk_fma_f32 v[60:61], v[78:79], s[18:19], v[60:61] op_sel:[1,0,0] op_sel_hi:[0,0,1]
	v_pk_fma_f32 v[60:61], v[76:77], s[22:23], v[60:61] op_sel:[1,0,0] op_sel_hi:[0,0,1] neg_lo:[1,0,0] neg_hi:[1,0,0]
	v_pk_fma_f32 v[64:65], v[76:77], s[22:23], v[64:65] op_sel:[1,0,0] op_sel_hi:[0,0,1]
	v_mov_b32_e32 v66, v64
	v_mov_b32_e32 v67, v61
	;; [unrolled: 1-line block ×3, first 2 shown]
	v_pk_fma_f32 v[66:67], v[62:63], s[20:21], v[66:67] op_sel_hi:[1,0,1]
	v_pk_fma_f32 v[60:61], v[62:63], s[20:21], v[60:61] op_sel_hi:[1,0,1]
	;; [unrolled: 1-line block ×3, first 2 shown]
	ds_write2_b64 v111, v[66:67], v[60:61] offset0:156 offset1:234
	ds_write_b64 v111, v[92:93] offset:2496
	s_waitcnt lgkmcnt(0)
	s_barrier
	ds_read2_b64 v[76:79], v57 offset0:42 offset1:198
	v_add_u32_e32 v57, 0x1800, v96
	ds_read2_b64 v[72:75], v96 offset1:117
	ds_read2_b64 v[80:83], v57 offset0:12 offset1:129
	ds_read2_b64 v[84:87], v101 offset0:123 offset1:240
	ds_read_b64 v[94:95], v96 offset:8112
	v_lshlrev_b32_e32 v57, 1, v98
	s_and_saveexec_b64 s[6:7], s[2:3]
	s_xor_b64 s[6:7], exec, s[6:7]
	s_andn2_saveexec_b64 s[6:7], s[6:7]
	s_cbranch_execz .LBB0_11
; %bb.10:
	ds_read_b64 v[60:61], v96 offset:5928
	ds_read_b64 v[88:89], v96 offset:9048
	;; [unrolled: 1-line block ×3, first 2 shown]
	s_waitcnt lgkmcnt(2)
	v_mov_b32_e32 v90, v60
	s_waitcnt lgkmcnt(1)
	v_mov_b32_e32 v91, v89
	v_mov_b32_e32 v89, v61
.LBB0_11:
	s_or_b64 exec, exec, s[6:7]
	s_movk_i32 s6, 0xffd9
	v_lshlrev_b32_e32 v57, 3, v57
	v_lshlrev_b32_e32 v56, 3, v56
	s_mov_b32 s7, -1
	global_load_dwordx4 v[60:63], v57, s[14:15] offset:3104
	global_load_dwordx4 v[64:67], v56, s[14:15] offset:3104
	;; [unrolled: 1-line block ×3, first 2 shown]
	v_lshl_add_u64 v[56:57], v[98:99], 0, s[6:7]
	v_cndmask_b32_e32 v57, v57, v59, vcc
	v_cndmask_b32_e32 v56, v56, v58, vcc
	v_lshl_add_u64 v[56:57], v[56:57], 4, s[14:15]
	global_load_dwordx4 v[56:59], v[56:57], off offset:3104
	s_mov_b32 s6, 0x3f5db3d7
	v_add_u32_e32 v99, 0x1d40, v210
	s_waitcnt vmcnt(2) lgkmcnt(1)
	v_pk_mul_f32 v[128:129], v[84:85], v[64:65] op_sel:[0,1]
	v_pk_mul_f32 v[124:125], v[78:79], v[60:61] op_sel:[0,1]
	v_mov_b32_e32 v126, v63
	v_mov_b32_e32 v130, v67
	v_pk_fma_f32 v[136:137], v[78:79], v[60:61], v[124:125] op_sel:[0,0,1] op_sel_hi:[1,1,0] neg_lo:[0,0,1] neg_hi:[0,0,1]
	v_pk_fma_f32 v[78:79], v[78:79], v[60:61], v[124:125] op_sel:[0,0,1] op_sel_hi:[1,0,0]
	v_pk_mul_f32 v[124:125], v[80:81], v[126:127] op_sel_hi:[1,0]
	s_waitcnt vmcnt(1)
	v_pk_mul_f32 v[132:133], v[86:87], v[68:69] op_sel:[0,1]
	v_mov_b32_e32 v134, v71
	v_pk_fma_f32 v[126:127], v[84:85], v[64:65], v[128:129] op_sel:[0,0,1] op_sel_hi:[1,1,0] neg_lo:[0,0,1] neg_hi:[0,0,1]
	v_pk_fma_f32 v[84:85], v[84:85], v[64:65], v[128:129] op_sel:[0,0,1] op_sel_hi:[1,0,0]
	v_pk_mul_f32 v[128:129], v[82:83], v[130:131] op_sel_hi:[1,0]
	v_mov_b32_e32 v137, v79
	v_pk_fma_f32 v[78:79], v[80:81], v[62:63], v[124:125] op_sel:[0,0,1] op_sel_hi:[1,1,0] neg_lo:[0,0,1] neg_hi:[0,0,1]
	v_pk_fma_f32 v[80:81], v[80:81], v[62:63], v[124:125] op_sel:[0,0,1] op_sel_hi:[1,0,0]
	v_pk_fma_f32 v[130:131], v[86:87], v[68:69], v[132:133] op_sel:[0,0,1] op_sel_hi:[1,1,0] neg_lo:[0,0,1] neg_hi:[0,0,1]
	v_pk_fma_f32 v[86:87], v[86:87], v[68:69], v[132:133] op_sel:[0,0,1] op_sel_hi:[1,0,0]
	s_waitcnt lgkmcnt(0)
	v_pk_mul_f32 v[132:133], v[94:95], v[134:135] op_sel_hi:[1,0]
	v_mov_b32_e32 v127, v85
	v_pk_fma_f32 v[84:85], v[82:83], v[66:67], v[128:129] op_sel:[0,0,1] op_sel_hi:[1,1,0] neg_lo:[0,0,1] neg_hi:[0,0,1]
	v_pk_fma_f32 v[82:83], v[82:83], v[66:67], v[128:129] op_sel:[0,0,1] op_sel_hi:[1,0,0]
	s_waitcnt vmcnt(0)
	v_pk_mul_f32 v[124:125], v[90:91], v[56:57] op_sel_hi:[0,1]
	v_pk_mul_f32 v[128:129], v[88:89], v[58:59] op_sel_hi:[0,1]
	v_mov_b32_e32 v79, v81
	v_pk_add_f32 v[80:81], v[72:73], v[136:137]
	v_mov_b32_e32 v131, v87
	v_pk_fma_f32 v[86:87], v[94:95], v[70:71], v[132:133] op_sel:[0,0,1] op_sel_hi:[1,1,0] neg_lo:[0,0,1] neg_hi:[0,0,1]
	v_pk_fma_f32 v[94:95], v[94:95], v[70:71], v[132:133] op_sel:[0,0,1] op_sel_hi:[1,0,0]
	v_mov_b32_e32 v85, v83
	v_pk_add_f32 v[82:83], v[74:75], v[126:127]
	v_pk_fma_f32 v[132:133], v[88:89], v[56:57], v[124:125] op_sel:[1,0,1] op_sel_hi:[1,1,0]
	v_pk_fma_f32 v[88:89], v[88:89], v[56:57], v[124:125] op_sel:[1,0,1] op_sel_hi:[1,1,0] neg_lo:[1,0,0] neg_hi:[1,0,0]
	v_pk_fma_f32 v[124:125], v[90:91], v[58:59], v[128:129] op_sel:[1,0,1] op_sel_hi:[1,1,0]
	v_pk_fma_f32 v[90:91], v[90:91], v[58:59], v[128:129] op_sel:[1,0,1] op_sel_hi:[1,1,0] neg_lo:[1,0,0] neg_hi:[1,0,0]
	v_pk_add_f32 v[128:129], v[80:81], v[78:79]
	v_pk_add_f32 v[134:135], v[136:137], v[78:79]
	v_pk_add_f32 v[78:79], v[136:137], v[78:79] neg_lo:[0,1] neg_hi:[0,1]
	v_pk_add_f32 v[136:137], v[82:83], v[84:85]
	v_pk_add_f32 v[138:139], v[126:127], v[84:85]
	v_pk_add_f32 v[84:85], v[126:127], v[84:85] neg_lo:[0,1] neg_hi:[0,1]
	v_mov_b32_e32 v133, v89
	v_mov_b32_e32 v125, v91
	;; [unrolled: 1-line block ×6, first 2 shown]
	v_pk_fma_f32 v[72:73], v[134:135], 0.5, v[72:73] op_sel_hi:[1,0,1] neg_lo:[1,0,0] neg_hi:[1,0,0]
	v_pk_mul_f32 v[78:79], v[78:79], s[6:7] op_sel_hi:[1,0]
	v_mov_b32_e32 v87, v95
	v_pk_add_f32 v[94:95], v[76:77], v[130:131]
	v_pk_fma_f32 v[74:75], v[138:139], 0.5, v[74:75] op_sel_hi:[1,0,1] neg_lo:[1,0,0] neg_hi:[1,0,0]
	v_pk_mul_f32 v[84:85], v[84:85], s[6:7] op_sel_hi:[1,0]
	v_pk_add_f32 v[88:89], v[80:81], v[82:83]
	v_pk_add_f32 v[90:91], v[132:133], v[124:125] neg_lo:[0,1] neg_hi:[0,1]
	v_pk_add_f32 v[124:125], v[72:73], v[78:79] op_sel:[0,1] op_sel_hi:[1,0]
	v_pk_add_f32 v[72:73], v[72:73], v[78:79] op_sel:[0,1] op_sel_hi:[1,0] neg_lo:[0,1] neg_hi:[0,1]
	v_pk_add_f32 v[94:95], v[94:95], v[86:87]
	v_pk_add_f32 v[126:127], v[130:131], v[86:87]
	v_pk_add_f32 v[86:87], v[130:131], v[86:87] neg_lo:[0,1] neg_hi:[0,1]
	v_pk_add_f32 v[78:79], v[74:75], v[84:85] op_sel:[0,1] op_sel_hi:[1,0]
	v_pk_add_f32 v[74:75], v[74:75], v[84:85] op_sel:[0,1] op_sel_hi:[1,0] neg_lo:[0,1] neg_hi:[0,1]
	v_pk_fma_f32 v[84:85], v[88:89], 0.5, v[92:93] op_sel_hi:[1,0,1] neg_lo:[1,0,0] neg_hi:[1,0,0]
	v_mov_b32_e32 v88, v124
	v_mov_b32_e32 v89, v73
	v_mov_b32_e32 v73, v125
	v_pk_fma_f32 v[76:77], v[126:127], 0.5, v[76:77] op_sel_hi:[1,0,1] neg_lo:[1,0,0] neg_hi:[1,0,0]
	v_mov_b32_e32 v127, v75
	v_mov_b32_e32 v75, v79
	ds_write_b64 v96, v[88:89] offset:3120
	ds_write_b64 v96, v[72:73] offset:6240
	ds_write2_b64 v96, v[128:129], v[136:137] offset1:117
	ds_write_b64 v96, v[74:75] offset:7176
	ds_write_b64 v96, v[94:95] offset:1872
	v_pk_mul_f32 v[72:73], v[86:87], s[6:7] op_sel_hi:[1,0]
	v_mov_b32_e32 v126, v78
	v_pk_add_f32 v[74:75], v[76:77], v[72:73] op_sel:[0,1] op_sel_hi:[1,0]
	v_pk_add_f32 v[76:77], v[76:77], v[72:73] op_sel:[0,1] op_sel_hi:[1,0] neg_lo:[0,1] neg_hi:[0,1]
	v_pk_fma_f32 v[78:79], v[90:91], s[6:7], v[84:85] op_sel_hi:[1,0,1] neg_lo:[1,0,0] neg_hi:[1,0,0]
	v_pk_fma_f32 v[124:125], v[90:91], s[6:7], v[84:85] op_sel_hi:[1,0,1]
	v_mov_b32_e32 v84, v74
	v_mov_b32_e32 v85, v77
	v_add_u32_e32 v72, 0xc00, v96
	v_mov_b32_e32 v77, v75
	ds_write2_b64 v72, v[126:127], v[84:85] offset0:123 offset1:240
	ds_write_b64 v96, v[76:77] offset:8112
	s_and_saveexec_b64 s[6:7], vcc
	s_cbranch_execz .LBB0_13
; %bb.12:
	v_pk_add_f32 v[74:75], v[92:93], v[80:81]
	s_nop 0
	v_pk_add_f32 v[74:75], v[74:75], v[82:83]
	ds_write_b64 v96, v[74:75] offset:2808
	v_mov_b32_e32 v74, v124
	v_mov_b32_e32 v75, v79
	ds_write_b64 v96, v[74:75] offset:5928
	v_mov_b32_e32 v74, v78
	v_mov_b32_e32 v75, v125
	ds_write_b64 v96, v[74:75] offset:9048
.LBB0_13:
	s_or_b64 exec, exec, s[6:7]
	v_lshlrev_b32_e32 v74, 3, v98
	v_mov_b32_e32 v75, 0
	v_lshl_add_u64 v[74:75], s[12:13], 0, v[74:75]
	s_movk_i32 s6, 0x2000
	v_add_co_u32_e64 v76, s[6:7], s6, v74
	s_waitcnt lgkmcnt(0)
	s_nop 0
	v_addc_co_u32_e64 v77, s[6:7], 0, v75, s[6:7]
	s_barrier
	s_mov_b64 s[12:13], 0x2490
	global_load_dwordx2 v[80:81], v[76:77], off offset:1168
	v_lshl_add_u64 v[76:77], v[74:75], 0, s[12:13]
	global_load_dwordx2 v[84:85], v[76:77], off offset:936
	s_movk_i32 s6, 0x3000
	v_add_co_u32_e64 v82, s[6:7], s6, v74
	v_add_u32_e32 v73, 0x1400, v96
	s_nop 0
	v_addc_co_u32_e64 v83, s[6:7], 0, v75, s[6:7]
	s_movk_i32 s6, 0x4000
	s_nop 0
	v_add_co_u32_e64 v74, s[6:7], s6, v74
	global_load_dwordx2 v[92:93], v[82:83], off offset:1752
	global_load_dwordx2 v[94:95], v[82:83], off offset:2688
	;; [unrolled: 1-line block ×5, first 2 shown]
	v_addc_co_u32_e64 v75, s[6:7], 0, v75, s[6:7]
	global_load_dwordx2 v[132:133], v[74:75], off offset:464
	global_load_dwordx2 v[134:135], v[76:77], off offset:3744
	;; [unrolled: 1-line block ×3, first 2 shown]
	ds_read2_b64 v[74:77], v96 offset1:117
	v_add_u32_e32 v101, 0x400, v96
	v_add_u32_e32 v102, 0x1c00, v96
	;; [unrolled: 1-line block ×5, first 2 shown]
	s_waitcnt vmcnt(9) lgkmcnt(0)
	v_mul_f32_e32 v82, v75, v81
	v_mul_f32_e32 v83, v74, v81
	v_fma_f32 v82, v74, v80, -v82
	v_fmac_f32_e32 v83, v75, v80
	s_waitcnt vmcnt(8)
	v_mul_f32_e32 v81, v77, v85
	v_mul_f32_e32 v139, v76, v85
	ds_write_b64 v96, v[82:83]
	v_fma_f32 v138, v76, v84, -v81
	ds_read2_b64 v[80:83], v72 offset0:84 offset1:201
	v_fmac_f32_e32 v139, v77, v84
	ds_read2_b64 v[74:77], v73 offset0:62 offset1:179
	ds_read2_b64 v[84:87], v101 offset0:106 offset1:223
	ds_read2_b64 v[88:91], v102 offset0:40 offset1:157
	s_waitcnt vmcnt(7) lgkmcnt(3)
	v_mul_f32_e32 v105, v83, v93
	v_mul_f32_e32 v141, v82, v93
	s_waitcnt vmcnt(6) lgkmcnt(2)
	v_mul_f32_e32 v142, v75, v95
	v_mul_f32_e32 v93, v74, v95
	;; [unrolled: 3-line block ×3, first 2 shown]
	v_mul_f32_e32 v144, v77, v127
	v_mul_f32_e32 v129, v76, v127
	s_waitcnt vmcnt(3)
	v_mul_f32_e32 v145, v87, v131
	v_mul_f32_e32 v127, v86, v131
	s_waitcnt vmcnt(2) lgkmcnt(0)
	v_mul_f32_e32 v146, v89, v133
	v_mul_f32_e32 v131, v88, v133
	s_waitcnt vmcnt(1)
	v_mul_f32_e32 v147, v81, v135
	v_mul_f32_e32 v133, v80, v135
	s_waitcnt vmcnt(0)
	v_mul_f32_e32 v148, v91, v137
	v_mul_f32_e32 v135, v90, v137
	v_fma_f32 v140, v82, v92, -v105
	v_fmac_f32_e32 v141, v83, v92
	v_fma_f32 v92, v74, v94, -v142
	v_fmac_f32_e32 v93, v75, v94
	;; [unrolled: 2-line block ×8, first 2 shown]
	ds_write2_b64 v100, v[140:141], v[92:93] offset0:73 offset1:190
	ds_write2_b64 v96, v[138:139], v[94:95] offset0:117 offset1:234
	;; [unrolled: 1-line block ×4, first 2 shown]
	ds_write_b64 v96, v[134:135] offset:8424
	s_waitcnt lgkmcnt(0)
	s_barrier
	ds_read2_b64 v[80:83], v96 offset1:117
	ds_read2_b64 v[92:95], v72 offset0:84 offset1:201
	ds_read2_b64 v[84:87], v73 offset0:62 offset1:179
	;; [unrolled: 1-line block ×4, first 2 shown]
	s_waitcnt lgkmcnt(0)
	v_pk_add_f32 v[74:75], v[80:81], v[94:95] neg_lo:[0,1] neg_hi:[0,1]
	v_pk_add_f32 v[90:91], v[82:83], v[84:85] neg_lo:[0,1] neg_hi:[0,1]
	v_pk_fma_f32 v[72:73], v[80:81], 2.0, v[74:75] op_sel_hi:[1,0,1] neg_lo:[0,0,1] neg_hi:[0,0,1]
	v_pk_fma_f32 v[88:89], v[82:83], 2.0, v[90:91] op_sel_hi:[1,0,1] neg_lo:[0,0,1] neg_hi:[0,0,1]
	v_pk_add_f32 v[82:83], v[126:127], v[86:87] neg_lo:[0,1] neg_hi:[0,1]
	v_pk_add_f32 v[86:87], v[128:129], v[130:131] neg_lo:[0,1] neg_hi:[0,1]
	v_pk_add_f32 v[94:95], v[92:93], v[132:133] neg_lo:[0,1] neg_hi:[0,1]
	v_pk_fma_f32 v[80:81], v[126:127], 2.0, v[82:83] op_sel_hi:[1,0,1] neg_lo:[0,0,1] neg_hi:[0,0,1]
	v_pk_fma_f32 v[84:85], v[128:129], 2.0, v[86:87] op_sel_hi:[1,0,1] neg_lo:[0,0,1] neg_hi:[0,0,1]
	;; [unrolled: 1-line block ×3, first 2 shown]
	s_barrier
	ds_write_b128 v210, v[72:75]
	ds_write_b128 v211, v[88:91]
	;; [unrolled: 1-line block ×5, first 2 shown]
	s_waitcnt lgkmcnt(0)
	s_barrier
	s_and_saveexec_b64 s[6:7], s[4:5]
	s_xor_b64 s[4:5], exec, s[6:7]
	s_andn2_saveexec_b64 s[4:5], s[4:5]
	s_cbranch_execz .LBB0_15
; %bb.14:
	v_add_u32_e32 v76, 0x400, v96
	ds_read2_b64 v[88:91], v76 offset0:52 offset1:142
	v_add_u32_e32 v76, 0x800, v96
	ds_read2_b64 v[80:83], v76 offset0:104 offset1:194
	;; [unrolled: 2-line block ×4, first 2 shown]
	v_add_u32_e32 v92, 0x1400, v96
	ds_read2_b64 v[72:75], v96 offset1:90
	ds_read2_b64 v[92:95], v92 offset0:80 offset1:170
	ds_read_b64 v[122:123], v96 offset:8640
	s_waitcnt lgkmcnt(3)
	v_mov_b32_e32 v124, v76
	v_mov_b32_e32 v125, v79
	;; [unrolled: 1-line block ×3, first 2 shown]
.LBB0_15:
	s_or_b64 exec, exec, s[4:5]
	s_waitcnt lgkmcnt(2)
	v_pk_mul_f32 v[76:77], v[16:17], v[74:75]
	v_mov_b32_e32 v126, v17
	v_mov_b32_e32 v76, v77
	v_pk_fma_f32 v[128:129], v[16:17], v[74:75], v[76:77]
	v_mov_b32_e32 v76, v75
	v_pk_mul_f32 v[74:75], v[126:127], v[74:75]
	v_pk_mul_f32 v[148:149], v[36:37], v[124:125] op_sel:[0,1]
	v_pk_fma_f32 v[132:133], v[16:17], v[76:77], v[74:75] neg_lo:[0,0,1] neg_hi:[0,0,1]
	v_pk_mul_f32 v[16:17], v[18:19], v[88:89]
	v_mov_b32_e32 v74, v19
	v_mov_b32_e32 v16, v17
	v_pk_fma_f32 v[126:127], v[18:19], v[88:89], v[16:17]
	v_mov_b32_e32 v16, v89
	v_pk_mul_f32 v[74:75], v[74:75], v[88:89]
	s_waitcnt lgkmcnt(1)
	v_pk_mul_f32 v[76:77], v[30:31], v[92:93] op_sel:[0,1]
	v_pk_fma_f32 v[134:135], v[18:19], v[16:17], v[74:75] neg_lo:[0,0,1] neg_hi:[0,0,1]
	v_pk_mul_f32 v[16:17], v[4:5], v[90:91]
	v_mov_b32_e32 v18, v5
	v_mov_b32_e32 v16, v17
	v_pk_fma_f32 v[130:131], v[4:5], v[90:91], v[16:17]
	v_mov_b32_e32 v16, v91
	v_pk_mul_f32 v[18:19], v[18:19], v[90:91]
	v_pk_mul_f32 v[88:89], v[32:33], v[94:95] op_sel:[0,1]
	v_pk_mul_f32 v[90:91], v[34:35], v[78:79] op_sel:[0,1]
	v_pk_fma_f32 v[136:137], v[4:5], v[16:17], v[18:19] neg_lo:[0,0,1] neg_hi:[0,0,1]
	v_pk_mul_f32 v[16:17], v[0:1], v[82:83] op_sel:[0,1]
	v_pk_mul_f32 v[18:19], v[2:3], v[84:85] op_sel:[0,1]
	v_pk_fma_f32 v[146:147], v[30:31], v[92:93], v[76:77] op_sel:[0,0,1] op_sel_hi:[1,0,0]
	v_pk_fma_f32 v[166:167], v[30:31], v[92:93], v[76:77] op_sel:[0,0,1] op_sel_hi:[1,0,0] neg_lo:[1,0,0] neg_hi:[1,0,0]
	v_pk_fma_f32 v[92:93], v[32:33], v[94:95], v[88:89] op_sel:[0,0,1] op_sel_hi:[1,0,0]
	v_pk_fma_f32 v[164:165], v[32:33], v[94:95], v[88:89] op_sel:[0,0,1] op_sel_hi:[1,0,0] neg_lo:[1,0,0] neg_hi:[1,0,0]
	v_pk_fma_f32 v[94:95], v[34:35], v[124:125], v[90:91] op_sel:[0,0,1] op_sel_hi:[1,0,0]
	v_pk_mul_f32 v[4:5], v[6:7], v[80:81] op_sel:[0,1]
	v_pk_mul_f32 v[74:75], v[28:29], v[86:87] op_sel:[0,1]
	v_pk_fma_f32 v[140:141], v[0:1], v[82:83], v[16:17] op_sel:[0,0,1] op_sel_hi:[1,0,0]
	v_pk_fma_f32 v[154:155], v[0:1], v[82:83], v[16:17] op_sel:[0,0,1] op_sel_hi:[1,0,0] neg_lo:[1,0,0] neg_hi:[1,0,0]
	v_pk_fma_f32 v[142:143], v[2:3], v[84:85], v[18:19] op_sel:[0,0,1] op_sel_hi:[1,0,0]
	v_pk_fma_f32 v[162:163], v[2:3], v[84:85], v[18:19] op_sel:[0,0,1] op_sel_hi:[1,0,0] neg_lo:[1,0,0] neg_hi:[1,0,0]
	v_pk_fma_f32 v[160:161], v[34:35], v[124:125], v[90:91] op_sel:[0,0,1] op_sel_hi:[1,0,0] neg_lo:[1,0,0] neg_hi:[1,0,0]
	v_pk_add_f32 v[2:3], v[130:131], v[94:95] neg_lo:[0,1] neg_hi:[0,1]
	v_pk_add_f32 v[0:1], v[130:131], v[94:95]
	v_pk_fma_f32 v[138:139], v[6:7], v[80:81], v[4:5] op_sel:[0,0,1] op_sel_hi:[1,0,0]
	v_pk_fma_f32 v[144:145], v[28:29], v[86:87], v[74:75] op_sel:[0,0,1] op_sel_hi:[1,0,0]
	v_pk_fma_f32 v[176:177], v[28:29], v[86:87], v[74:75] op_sel:[0,0,1] op_sel_hi:[1,0,0] neg_lo:[1,0,0] neg_hi:[1,0,0]
	v_mov_b32_e32 v1, v2
	v_pk_add_f32 v[2:3], v[136:137], v[160:161] op_sel_hi:[0,1]
	v_pk_add_f32 v[28:29], v[136:137], v[160:161] op_sel:[0,1] neg_lo:[0,1] neg_hi:[0,1]
	v_pk_fma_f32 v[150:151], v[6:7], v[80:81], v[4:5] op_sel:[0,0,1] op_sel_hi:[1,0,0] neg_lo:[1,0,0] neg_hi:[1,0,0]
	v_mov_b32_e32 v29, v3
	v_pk_add_f32 v[4:5], v[138:139], v[92:93] neg_lo:[0,1] neg_hi:[0,1]
	v_pk_add_f32 v[2:3], v[138:139], v[92:93]
	v_pk_add_f32 v[30:31], v[150:151], v[164:165]
	v_mov_b32_e32 v3, v4
	v_pk_add_f32 v[4:5], v[150:151], v[164:165] neg_lo:[0,1] neg_hi:[0,1]
	s_waitcnt lgkmcnt(0)
	v_pk_mul_f32 v[152:153], v[38:39], v[122:123] op_sel:[0,1]
	v_mov_b32_e32 v30, v5
	v_pk_add_f32 v[6:7], v[140:141], v[146:147] neg_lo:[0,1] neg_hi:[0,1]
	v_pk_add_f32 v[4:5], v[140:141], v[146:147]
	v_pk_fma_f32 v[124:125], v[36:37], v[78:79], v[148:149] op_sel:[0,0,1] op_sel_hi:[1,0,0]
	v_pk_fma_f32 v[178:179], v[36:37], v[78:79], v[148:149] op_sel:[0,0,1] op_sel_hi:[1,0,0] neg_lo:[1,0,0] neg_hi:[1,0,0]
	v_pk_fma_f32 v[148:149], v[38:39], v[122:123], v[152:153] op_sel:[0,0,1] op_sel_hi:[1,0,0]
	v_pk_fma_f32 v[180:181], v[38:39], v[122:123], v[152:153] op_sel:[0,0,1] op_sel_hi:[1,0,0] neg_lo:[1,0,0] neg_hi:[1,0,0]
	v_mov_b32_e32 v5, v6
	v_pk_add_f32 v[38:39], v[154:155], v[166:167]
	v_pk_add_f32 v[6:7], v[154:155], v[166:167] neg_lo:[0,1] neg_hi:[0,1]
	v_pk_add_f32 v[16:17], v[142:143], v[144:145] neg_lo:[0,1] neg_hi:[0,1]
	v_mov_b32_e32 v38, v7
	v_pk_add_f32 v[6:7], v[142:143], v[144:145]
	v_pk_add_f32 v[74:75], v[162:163], v[176:177]
	v_mov_b32_e32 v7, v16
	v_pk_add_f32 v[16:17], v[162:163], v[176:177] neg_lo:[0,1] neg_hi:[0,1]
	v_pk_add_f32 v[18:19], v[128:129], v[148:149] neg_lo:[0,1] neg_hi:[0,1]
	v_mov_b32_e32 v74, v17
	v_pk_add_f32 v[16:17], v[128:129], v[148:149]
	s_mov_b32 s42, 0xbf7e222b
	v_mov_b32_e32 v17, v18
	v_pk_add_f32 v[80:81], v[132:133], v[180:181] op_sel:[0,1] neg_lo:[0,1] neg_hi:[0,1]
	v_pk_add_f32 v[18:19], v[132:133], v[180:181] op_sel_hi:[0,1]
	s_mov_b32 s43, 0x3df6dbef
	v_mov_b32_e32 v81, v19
	s_mov_b32 s6, s43
	s_mov_b32 s7, s42
	v_pk_mul_f32 v[152:153], v[80:81], s[42:43]
	s_mov_b32 s24, 0x3e750f2a
	v_pk_fma_f32 v[18:19], v[16:17], s[6:7], v[152:153] neg_lo:[0,0,1] neg_hi:[0,0,1]
	v_pk_fma_f32 v[122:123], v[16:17], s[6:7], v[152:153]
	v_pk_add_f32 v[82:83], v[126:127], v[124:125] neg_lo:[0,1] neg_hi:[0,1]
	v_mov_b32_e32 v19, v123
	v_pk_add_f32 v[156:157], v[72:73], v[18:19]
	v_pk_add_f32 v[18:19], v[126:127], v[124:125]
	s_mov_b32 s25, 0xbf788fa5
	v_mov_b32_e32 v19, v82
	v_pk_add_f32 v[82:83], v[134:135], v[178:179] op_sel:[0,1] neg_lo:[0,1] neg_hi:[0,1]
	v_pk_add_f32 v[158:159], v[134:135], v[178:179] op_sel_hi:[0,1]
	v_mov_b32_e32 v83, v159
	s_mov_b32 s28, 0xbe750f2a
	s_mov_b32 s29, s25
	v_pk_mul_f32 v[168:169], v[82:83], s[28:29]
	s_mov_b32 s14, s25
	s_mov_b32 s15, s28
	v_pk_fma_f32 v[158:159], v[18:19], s[14:15], v[168:169] neg_lo:[0,0,1] neg_hi:[0,0,1]
	v_pk_fma_f32 v[174:175], v[18:19], s[14:15], v[168:169]
	s_mov_b32 s22, 0xbf6f5d39
	v_mov_b32_e32 v159, v175
	s_mov_b32 s23, 0xbeb58ec6
	v_pk_add_f32 v[186:187], v[158:159], v[156:157]
	v_pk_mul_f32 v[156:157], v[80:81], s[22:23]
	s_mov_b32 s20, s23
	s_mov_b32 s21, s22
	v_pk_fma_f32 v[158:159], v[16:17], s[20:21], v[156:157]
	v_pk_fma_f32 v[170:171], v[16:17], s[20:21], v[156:157] neg_lo:[0,0,1] neg_hi:[0,0,1]
	s_mov_b32 s37, 0xbf3f9e67
	v_mov_b32_e32 v171, v159
	s_mov_b32 s36, 0x3f29c268
	s_mov_b32 s18, 0x3eedf032
	v_pk_add_f32 v[182:183], v[72:73], v[170:171]
	v_pk_mul_f32 v[170:171], v[82:83], s[36:37]
	s_mov_b32 s50, s37
	s_mov_b32 s51, s36
	;; [unrolled: 1-line block ×3, first 2 shown]
	v_pk_fma_f32 v[172:173], v[18:19], s[50:51], v[170:171]
	v_pk_fma_f32 v[184:185], v[18:19], s[50:51], v[170:171] neg_lo:[0,0,1] neg_hi:[0,0,1]
	v_pk_mul_f32 v[76:77], v[28:29], s[18:19]
	s_mov_b32 s4, s19
	s_mov_b32 s5, s18
	v_mov_b32_e32 v185, v173
	s_mov_b32 s26, 0x3f6f5d39
	s_mov_b32 s27, s23
	v_pk_fma_f32 v[78:79], v[0:1], s[4:5], v[76:77]
	v_pk_fma_f32 v[32:33], v[0:1], s[4:5], v[76:77] neg_lo:[0,0,1] neg_hi:[0,0,1]
	v_pk_add_f32 v[188:189], v[184:185], v[182:183]
	v_pk_mul_f32 v[182:183], v[28:29], s[26:27]
	s_mov_b32 s52, s23
	s_mov_b32 s53, s26
	v_mov_b32_e32 v33, v79
	v_pk_fma_f32 v[190:191], v[0:1], s[52:53], v[182:183] neg_lo:[0,0,1] neg_hi:[0,0,1]
	v_pk_fma_f32 v[184:185], v[0:1], s[52:53], v[182:183]
	s_mov_b32 s48, 0xbf52af12
	v_mov_b32_e32 v191, v185
	v_pk_add_f32 v[32:33], v[32:33], v[188:189]
	v_pk_mul_f32 v[188:189], v[30:31], s[18:19]
	s_mov_b32 s49, 0x3f116cb1
	v_pk_mul_f32 v[84:85], v[30:31], s[42:43]
	v_pk_add_f32 v[190:191], v[190:191], v[186:187]
	v_pk_fma_f32 v[192:193], v[2:3], s[4:5], v[188:189] neg_lo:[0,0,1] neg_hi:[0,0,1]
	v_pk_fma_f32 v[186:187], v[2:3], s[4:5], v[188:189]
	v_pk_mul_f32 v[218:219], v[80:81], s[48:49]
	s_mov_b32 s26, s49
	s_mov_b32 s27, s48
	v_pk_fma_f32 v[86:87], v[2:3], s[6:7], v[84:85]
	v_pk_fma_f32 v[34:35], v[2:3], s[6:7], v[84:85] neg_lo:[0,0,1] neg_hi:[0,0,1]
	v_mov_b32_e32 v193, v187
	v_pk_fma_f32 v[212:213], v[16:17], s[26:27], v[218:219] neg_lo:[0,0,1] neg_hi:[0,0,1]
	v_pk_fma_f32 v[220:221], v[16:17], s[26:27], v[218:219]
	v_pk_mul_f32 v[224:225], v[82:83], s[22:23]
	v_mov_b32_e32 v35, v87
	v_pk_add_f32 v[206:207], v[192:193], v[190:191]
	v_pk_mul_f32 v[192:193], v[28:29], s[28:29]
	v_mov_b32_e32 v213, v221
	v_pk_fma_f32 v[216:217], v[18:19], s[20:21], v[224:225] neg_lo:[0,0,1] neg_hi:[0,0,1]
	v_pk_fma_f32 v[222:223], v[18:19], s[20:21], v[224:225]
	v_pk_add_f32 v[32:33], v[34:35], v[32:33]
	v_pk_fma_f32 v[34:35], v[0:1], s[14:15], v[192:193] neg_lo:[0,0,1] neg_hi:[0,0,1]
	v_pk_fma_f32 v[190:191], v[0:1], s[14:15], v[192:193]
	v_pk_mul_f32 v[196:197], v[30:31], s[36:37]
	s_mov_b32 s40, 0x3f7e222b
	s_mov_b32 s41, s43
	v_pk_add_f32 v[212:213], v[72:73], v[212:213]
	v_mov_b32_e32 v217, v223
	v_mov_b32_e32 v35, v191
	v_pk_fma_f32 v[208:209], v[2:3], s[50:51], v[196:197] neg_lo:[0,0,1] neg_hi:[0,0,1]
	v_pk_fma_f32 v[194:195], v[2:3], s[50:51], v[196:197]
	v_pk_mul_f32 v[198:199], v[38:39], s[40:41]
	s_mov_b32 s30, s43
	s_mov_b32 s31, s40
	v_pk_add_f32 v[212:213], v[216:217], v[212:213]
	v_mov_b32_e32 v209, v195
	v_pk_fma_f32 v[210:211], v[4:5], s[30:31], v[198:199] neg_lo:[0,0,1] neg_hi:[0,0,1]
	v_pk_fma_f32 v[200:201], v[4:5], s[30:31], v[198:199]
	v_pk_mul_f32 v[204:205], v[74:75], s[18:19]
	v_pk_add_f32 v[34:35], v[34:35], v[212:213]
	v_pk_mul_f32 v[88:89], v[38:39], s[24:25]
	s_mov_b32 s12, s25
	s_mov_b32 s13, s24
	v_mov_b32_e32 v211, v201
	v_pk_fma_f32 v[214:215], v[6:7], s[4:5], v[204:205] neg_lo:[0,0,1] neg_hi:[0,0,1]
	v_pk_fma_f32 v[202:203], v[6:7], s[4:5], v[204:205]
	v_pk_add_f32 v[34:35], v[208:209], v[34:35]
	v_pk_fma_f32 v[90:91], v[4:5], s[12:13], v[88:89]
	v_pk_fma_f32 v[36:37], v[4:5], s[12:13], v[88:89] neg_lo:[0,0,1] neg_hi:[0,0,1]
	v_mov_b32_e32 v215, v203
	v_pk_add_f32 v[34:35], v[210:211], v[34:35]
	v_pk_mul_f32 v[212:213], v[38:39], s[48:49]
	s_mov_b32 s36, 0xbf29c268
	v_mov_b32_e32 v37, v91
	v_pk_fma_f32 v[208:209], v[4:5], s[26:27], v[212:213] neg_lo:[0,0,1] neg_hi:[0,0,1]
	v_pk_fma_f32 v[210:211], v[4:5], s[26:27], v[212:213]
	v_pk_add_f32 v[34:35], v[214:215], v[34:35]
	v_pk_mul_f32 v[214:215], v[74:75], s[36:37]
	s_mov_b32 s34, s37
	s_mov_b32 s35, s36
	v_mov_b32_e32 v209, v211
	v_pk_add_f32 v[32:33], v[36:37], v[32:33]
	v_pk_fma_f32 v[36:37], v[6:7], s[34:35], v[214:215] neg_lo:[0,0,1] neg_hi:[0,0,1]
	v_pk_fma_f32 v[216:217], v[6:7], s[34:35], v[214:215]
	v_pk_add_f32 v[206:207], v[208:209], v[206:207]
	v_mov_b32_e32 v37, v217
	s_mov_b32 s46, 0x3f52af12
	s_mov_b32 s47, s49
	v_pk_add_f32 v[36:37], v[36:37], v[206:207]
	v_pk_mul_f32 v[206:207], v[74:75], s[46:47]
	s_mov_b32 s44, s49
	s_mov_b32 s45, s46
	v_pk_fma_f32 v[208:209], v[6:7], s[44:45], v[206:207]
	v_pk_fma_f32 v[234:235], v[6:7], s[44:45], v[206:207] neg_lo:[0,0,1] neg_hi:[0,0,1]
	s_nop 0
	v_mov_b32_e32 v235, v209
	v_pk_add_f32 v[32:33], v[234:235], v[32:33]
	s_barrier
	s_and_saveexec_b64 s[38:39], s[0:1]
	s_cbranch_execz .LBB0_17
; %bb.16:
	v_mov_b32_e32 v79, v132
	v_pk_add_f32 v[132:133], v[78:79], v[72:73]
	v_pk_add_f32 v[128:129], v[72:73], v[128:129]
	v_mov_b32_e32 v127, v134
	v_mov_b32_e32 v129, v133
	v_pk_add_f32 v[126:127], v[126:127], v[128:129]
	v_mov_b32_e32 v131, v136
	v_mov_b32_e32 v139, v151
	v_pk_add_f32 v[126:127], v[130:131], v[126:127]
	v_mov_b32_e32 v141, v155
	v_pk_add_f32 v[126:127], v[138:139], v[126:127]
	;; [unrolled: 2-line block ×6, first 2 shown]
	s_mov_b32 s1, 0xbeedf032
	v_pk_mul_f32 v[246:247], v[18:19], s[50:51]
	v_pk_mul_f32 v[254:255], v[2:3], s[50:51]
	v_mov_b32_e32 v95, v161
	v_pk_add_f32 v[92:93], v[92:93], v[126:127]
	s_mov_b32 s50, s1
	s_mov_b32 s51, s19
	v_mov_b32_e32 v125, v179
	v_pk_add_f32 v[92:93], v[94:95], v[92:93]
	s_mov_b32 s0, s19
	v_pk_mul_f32 v[94:95], v[80:81], s[50:51]
	v_pk_add_f32 v[92:93], v[124:125], v[92:93]
	v_pk_fma_f32 v[124:125], v[16:17], s[0:1], v[94:95]
	v_pk_fma_f32 v[126:127], v[16:17], s[0:1], v[94:95] neg_lo:[1,0,0] neg_hi:[1,0,0]
	v_pk_mul_f32 v[128:129], v[82:83], s[48:49]
	v_mov_b32_e32 v126, v124
	v_pk_fma_f32 v[130:131], v[18:19], s[26:27], v[128:129]
	v_pk_fma_f32 v[132:133], v[18:19], s[26:27], v[128:129] neg_lo:[1,0,0] neg_hi:[1,0,0]
	v_pk_add_f32 v[126:127], v[72:73], v[126:127]
	v_mov_b32_e32 v132, v130
	v_pk_add_f32 v[126:127], v[132:133], v[126:127]
	v_pk_mul_f32 v[132:133], v[28:29], s[42:43]
	v_mov_b32_e32 v99, v240
	v_pk_fma_f32 v[134:135], v[0:1], s[6:7], v[132:133]
	v_pk_fma_f32 v[136:137], v[0:1], s[6:7], v[132:133] neg_lo:[1,0,0] neg_hi:[1,0,0]
	v_mov_b32_e32 v149, v181
	v_mov_b32_e32 v136, v134
	v_pk_add_f32 v[126:127], v[136:137], v[126:127]
	v_pk_mul_f32 v[136:137], v[30:31], s[22:23]
	v_mov_b32_e32 v87, v232
	v_pk_fma_f32 v[138:139], v[2:3], s[20:21], v[136:137]
	v_pk_fma_f32 v[140:141], v[2:3], s[20:21], v[136:137] neg_lo:[1,0,0] neg_hi:[1,0,0]
	v_mul_u32_u24_e32 v79, 26, v99
	v_mov_b32_e32 v140, v138
	v_pk_add_f32 v[126:127], v[140:141], v[126:127]
	v_pk_mul_f32 v[140:141], v[38:39], s[36:37]
	v_pk_add_f32 v[92:93], v[148:149], v[92:93]
	v_pk_fma_f32 v[142:143], v[4:5], s[34:35], v[140:141]
	v_pk_fma_f32 v[144:145], v[4:5], s[34:35], v[140:141] neg_lo:[1,0,0] neg_hi:[1,0,0]
	v_or_b32_e32 v79, v79, v87
	v_mov_b32_e32 v144, v142
	v_pk_add_f32 v[126:127], v[144:145], v[126:127]
	v_pk_mul_f32 v[144:145], v[74:75], s[28:29]
	v_mov_b32_e32 v91, v233
	v_pk_fma_f32 v[146:147], v[6:7], s[14:15], v[144:145]
	v_pk_fma_f32 v[148:149], v[6:7], s[14:15], v[144:145] neg_lo:[1,0,0] neg_hi:[1,0,0]
	v_pk_mul_f32 v[232:233], v[18:19], s[20:21]
	v_mov_b32_e32 v148, v146
	v_lshlrev_b32_e32 v99, 3, v79
	v_pk_add_f32 v[126:127], v[148:149], v[126:127]
	v_pk_mul_f32 v[252:253], v[0:1], s[14:15]
	ds_write2_b64 v99, v[92:93], v[126:127] offset1:2
	v_pk_add_f32 v[126:127], v[224:225], v[232:233] neg_lo:[0,1] neg_hi:[0,1]
	v_accvgpr_write_b32 a0, v226
	v_mov_b32_e32 v223, v127
	v_pk_add_f32 v[126:127], v[192:193], v[252:253] neg_lo:[0,1] neg_hi:[0,1]
	v_accvgpr_write_b32 a1, v227
	v_pk_mul_f32 v[226:227], v[4:5], s[30:31]
	v_accvgpr_write_b32 a2, v228
	v_mov_b32_e32 v191, v127
	v_pk_add_f32 v[126:127], v[196:197], v[254:255] neg_lo:[0,1] neg_hi:[0,1]
	v_accvgpr_write_b32 a3, v229
	v_pk_mul_f32 v[228:229], v[6:7], s[4:5]
	v_accvgpr_write_b32 a4, v230
	v_mov_b32_e32 v195, v127
	v_pk_add_f32 v[126:127], v[198:199], v[226:227] neg_lo:[0,1] neg_hi:[0,1]
	v_pk_mul_f32 v[240:241], v[16:17], s[6:7]
	v_accvgpr_write_b32 a5, v231
	v_pk_mul_f32 v[230:231], v[16:17], s[26:27]
	v_mov_b32_e32 v201, v127
	v_pk_add_f32 v[126:127], v[204:205], v[228:229] neg_lo:[0,1] neg_hi:[0,1]
	v_pk_mul_f32 v[242:243], v[18:19], s[14:15]
	v_pk_add_f32 v[92:93], v[218:219], v[230:231] neg_lo:[0,1] neg_hi:[0,1]
	v_mov_b32_e32 v203, v127
	v_pk_add_f32 v[126:127], v[152:153], v[240:241] neg_lo:[0,1] neg_hi:[0,1]
	v_pk_mul_f32 v[248:249], v[0:1], s[52:53]
	v_mov_b32_e32 v221, v93
	v_mov_b32_e32 v123, v127
	v_pk_add_f32 v[126:127], v[168:169], v[242:243] neg_lo:[0,1] neg_hi:[0,1]
	v_pk_mul_f32 v[250:251], v[2:3], s[4:5]
	v_pk_add_f32 v[92:93], v[72:73], v[220:221]
	v_pk_add_f32 v[122:123], v[72:73], v[122:123]
	v_mov_b32_e32 v175, v127
	v_pk_add_f32 v[126:127], v[182:183], v[248:249] neg_lo:[0,1] neg_hi:[0,1]
	v_pk_mul_f32 v[100:101], v[4:5], s[26:27]
	v_pk_add_f32 v[92:93], v[222:223], v[92:93]
	v_pk_add_f32 v[122:123], v[174:175], v[122:123]
	;; [unrolled: 5-line block ×3, first 2 shown]
	v_mov_b32_e32 v187, v127
	v_pk_add_f32 v[100:101], v[212:213], v[100:101] neg_lo:[0,1] neg_hi:[0,1]
	v_pk_add_f32 v[92:93], v[194:195], v[92:93]
	v_pk_add_f32 v[122:123], v[186:187], v[122:123]
	v_mov_b32_e32 v211, v101
	v_pk_add_f32 v[102:103], v[214:215], v[102:103] neg_lo:[0,1] neg_hi:[0,1]
	v_pk_add_f32 v[92:93], v[200:201], v[92:93]
	v_pk_add_f32 v[100:101], v[210:211], v[122:123]
	v_mov_b32_e32 v217, v103
	v_pk_mul_f32 v[244:245], v[16:17], s[20:21]
	v_pk_add_f32 v[92:93], v[202:203], v[92:93]
	v_pk_add_f32 v[100:101], v[216:217], v[100:101]
	ds_write2_b64 v99, v[92:93], v[100:101] offset0:4 offset1:6
	v_pk_add_f32 v[92:93], v[156:157], v[244:245] neg_lo:[0,1] neg_hi:[0,1]
	v_pk_mul_f32 v[234:235], v[0:1], s[4:5]
	v_mov_b32_e32 v159, v93
	v_pk_add_f32 v[100:101], v[170:171], v[246:247] neg_lo:[0,1] neg_hi:[0,1]
	v_pk_add_f32 v[92:93], v[72:73], v[158:159]
	v_mov_b32_e32 v173, v101
	v_pk_add_f32 v[76:77], v[76:77], v[234:235] neg_lo:[0,1] neg_hi:[0,1]
	v_mov_b32_e32 v150, v236
	v_mov_b32_e32 v154, v237
	v_pk_mul_f32 v[236:237], v[2:3], s[6:7]
	v_pk_add_f32 v[92:93], v[172:173], v[92:93]
	v_mov_b32_e32 v79, v77
	v_mov_b32_e32 v160, v238
	;; [unrolled: 1-line block ×3, first 2 shown]
	v_pk_mul_f32 v[238:239], v[4:5], s[12:13]
	v_pk_add_f32 v[76:77], v[78:79], v[92:93]
	v_pk_add_f32 v[78:79], v[84:85], v[236:237] neg_lo:[0,1] neg_hi:[0,1]
	v_pk_mul_f32 v[104:105], v[6:7], s[44:45]
	v_mov_b32_e32 v87, v79
	v_pk_add_f32 v[78:79], v[88:89], v[238:239] neg_lo:[0,1] neg_hi:[0,1]
	v_mov_b32_e32 v233, v91
	v_mov_b32_e32 v91, v79
	v_pk_add_f32 v[78:79], v[206:207], v[104:105] neg_lo:[0,1] neg_hi:[0,1]
	v_pk_mul_f32 v[84:85], v[82:83], s[40:41]
	v_mov_b32_e32 v209, v79
	v_pk_mul_f32 v[78:79], v[80:81], s[36:37]
	v_pk_fma_f32 v[104:105], v[18:19], s[30:31], v[84:85]
	v_pk_fma_f32 v[100:101], v[16:17], s[34:35], v[78:79]
	v_pk_fma_f32 v[102:103], v[16:17], s[34:35], v[78:79] neg_lo:[1,0,0] neg_hi:[1,0,0]
	v_pk_fma_f32 v[122:123], v[18:19], s[30:31], v[84:85] neg_lo:[1,0,0] neg_hi:[1,0,0]
	v_mov_b32_e32 v102, v100
	v_pk_add_f32 v[76:77], v[86:87], v[76:77]
	v_pk_mul_f32 v[86:87], v[28:29], s[48:49]
	v_pk_add_f32 v[102:103], v[72:73], v[102:103]
	v_mov_b32_e32 v122, v104
	v_pk_add_f32 v[102:103], v[122:123], v[102:103]
	v_pk_fma_f32 v[122:123], v[0:1], s[26:27], v[86:87]
	v_pk_fma_f32 v[126:127], v[0:1], s[26:27], v[86:87] neg_lo:[1,0,0] neg_hi:[1,0,0]
	v_pk_mul_f32 v[88:89], v[30:31], s[24:25]
	v_mov_b32_e32 v126, v122
	v_pk_add_f32 v[102:103], v[126:127], v[102:103]
	v_pk_fma_f32 v[126:127], v[2:3], s[12:13], v[88:89]
	v_pk_fma_f32 v[148:149], v[2:3], s[12:13], v[88:89] neg_lo:[1,0,0] neg_hi:[1,0,0]
	v_pk_add_f32 v[76:77], v[90:91], v[76:77]
	v_pk_mul_f32 v[90:91], v[38:39], s[18:19]
	v_mov_b32_e32 v148, v126
	v_mov_b32_e32 v236, v150
	v_pk_add_f32 v[102:103], v[148:149], v[102:103]
	v_pk_fma_f32 v[148:149], v[4:5], s[4:5], v[90:91]
	v_pk_fma_f32 v[150:151], v[4:5], s[4:5], v[90:91] neg_lo:[1,0,0] neg_hi:[1,0,0]
	v_pk_mul_f32 v[92:93], v[74:75], s[22:23]
	v_mov_b32_e32 v150, v148
	v_pk_add_f32 v[102:103], v[150:151], v[102:103]
	v_pk_fma_f32 v[150:151], v[6:7], s[20:21], v[92:93]
	v_pk_fma_f32 v[152:153], v[6:7], s[20:21], v[92:93] neg_lo:[1,0,0] neg_hi:[1,0,0]
	v_pk_add_f32 v[76:77], v[208:209], v[76:77]
	v_mov_b32_e32 v152, v150
	v_pk_add_f32 v[102:103], v[152:153], v[102:103]
	ds_write2_b64 v99, v[76:77], v[102:103] offset0:8 offset1:10
	v_pk_mul_f32 v[76:77], v[80:81], s[28:29]
	v_pk_mul_f32 v[82:83], v[82:83], s[18:19]
	v_pk_fma_f32 v[80:81], v[16:17], s[14:15], v[76:77]
	v_pk_fma_f32 v[102:103], v[16:17], s[14:15], v[76:77] neg_lo:[1,0,0] neg_hi:[1,0,0]
	v_mov_b32_e32 v237, v154
	v_mov_b32_e32 v102, v80
	v_pk_fma_f32 v[152:153], v[18:19], s[4:5], v[82:83]
	v_pk_fma_f32 v[154:155], v[18:19], s[4:5], v[82:83] neg_lo:[1,0,0] neg_hi:[1,0,0]
	v_pk_add_f32 v[102:103], v[72:73], v[102:103]
	v_mov_b32_e32 v154, v152
	v_pk_mul_f32 v[28:29], v[28:29], s[36:37]
	v_pk_fma_f32 v[76:77], v[16:17], s[14:15], v[76:77] neg_lo:[0,0,1] neg_hi:[0,0,1]
	v_pk_add_f32 v[102:103], v[154:155], v[102:103]
	v_pk_fma_f32 v[154:155], v[0:1], s[34:35], v[28:29]
	v_pk_fma_f32 v[156:157], v[0:1], s[34:35], v[28:29] neg_lo:[1,0,0] neg_hi:[1,0,0]
	v_mov_b32_e32 v77, v81
	v_pk_fma_f32 v[80:81], v[18:19], s[4:5], v[82:83] neg_lo:[0,0,1] neg_hi:[0,0,1]
	v_mov_b32_e32 v156, v154
	v_pk_mul_f32 v[30:31], v[30:31], s[46:47]
	v_pk_add_f32 v[76:77], v[72:73], v[76:77]
	v_mov_b32_e32 v81, v153
	v_pk_fma_f32 v[28:29], v[0:1], s[34:35], v[28:29] neg_lo:[0,0,1] neg_hi:[0,0,1]
	v_pk_add_f32 v[102:103], v[156:157], v[102:103]
	v_pk_fma_f32 v[156:157], v[2:3], s[44:45], v[30:31]
	v_pk_fma_f32 v[158:159], v[2:3], s[44:45], v[30:31] neg_lo:[1,0,0] neg_hi:[1,0,0]
	v_pk_add_f32 v[76:77], v[80:81], v[76:77]
	v_mov_b32_e32 v29, v155
	v_pk_fma_f32 v[30:31], v[2:3], s[44:45], v[30:31] neg_lo:[0,0,1] neg_hi:[0,0,1]
	v_mov_b32_e32 v158, v156
	v_pk_mul_f32 v[38:39], v[38:39], s[22:23]
	v_pk_add_f32 v[28:29], v[28:29], v[76:77]
	v_mov_b32_e32 v31, v157
	v_mov_b32_e32 v238, v160
	v_pk_add_f32 v[102:103], v[158:159], v[102:103]
	v_pk_fma_f32 v[158:159], v[4:5], s[20:21], v[38:39]
	v_pk_fma_f32 v[160:161], v[4:5], s[20:21], v[38:39] neg_lo:[1,0,0] neg_hi:[1,0,0]
	v_pk_add_f32 v[28:29], v[30:31], v[28:29]
	v_pk_fma_f32 v[30:31], v[4:5], s[20:21], v[38:39] neg_lo:[0,0,1] neg_hi:[0,0,1]
	v_mov_b32_e32 v160, v158
	v_pk_mul_f32 v[74:75], v[74:75], s[40:41]
	v_mov_b32_e32 v31, v159
	v_mov_b32_e32 v239, v162
	v_pk_add_f32 v[102:103], v[160:161], v[102:103]
	v_pk_fma_f32 v[160:161], v[6:7], s[30:31], v[74:75]
	v_pk_fma_f32 v[162:163], v[6:7], s[30:31], v[74:75] neg_lo:[1,0,0] neg_hi:[1,0,0]
	v_pk_add_f32 v[28:29], v[30:31], v[28:29]
	v_pk_fma_f32 v[30:31], v[6:7], s[30:31], v[74:75] neg_lo:[0,0,1] neg_hi:[0,0,1]
	v_mov_b32_e32 v162, v160
	v_mov_b32_e32 v31, v161
	v_pk_add_f32 v[102:103], v[162:163], v[102:103]
	v_pk_add_f32 v[28:29], v[30:31], v[28:29]
	ds_write2_b64 v99, v[102:103], v[28:29] offset0:12 offset1:14
	v_pk_fma_f32 v[28:29], v[16:17], s[34:35], v[78:79] neg_lo:[0,0,1] neg_hi:[0,0,1]
	v_pk_fma_f32 v[30:31], v[18:19], s[30:31], v[84:85] neg_lo:[0,0,1] neg_hi:[0,0,1]
	v_mov_b32_e32 v29, v101
	v_pk_add_f32 v[28:29], v[72:73], v[28:29]
	v_mov_b32_e32 v31, v105
	v_pk_fma_f32 v[16:17], v[16:17], s[0:1], v[94:95] neg_lo:[0,0,1] neg_hi:[0,0,1]
	v_pk_add_f32 v[28:29], v[30:31], v[28:29]
	v_pk_fma_f32 v[30:31], v[0:1], s[26:27], v[86:87] neg_lo:[0,0,1] neg_hi:[0,0,1]
	v_mov_b32_e32 v17, v125
	v_pk_fma_f32 v[18:19], v[18:19], s[26:27], v[128:129] neg_lo:[0,0,1] neg_hi:[0,0,1]
	v_mov_b32_e32 v31, v123
	v_pk_add_f32 v[16:17], v[72:73], v[16:17]
	v_mov_b32_e32 v19, v131
	v_pk_fma_f32 v[0:1], v[0:1], s[6:7], v[132:133] neg_lo:[0,0,1] neg_hi:[0,0,1]
	v_pk_add_f32 v[28:29], v[30:31], v[28:29]
	v_pk_fma_f32 v[30:31], v[2:3], s[12:13], v[88:89] neg_lo:[0,0,1] neg_hi:[0,0,1]
	v_pk_add_f32 v[16:17], v[18:19], v[16:17]
	v_mov_b32_e32 v1, v135
	v_pk_fma_f32 v[2:3], v[2:3], s[20:21], v[136:137] neg_lo:[0,0,1] neg_hi:[0,0,1]
	v_mov_b32_e32 v31, v127
	v_pk_add_f32 v[0:1], v[0:1], v[16:17]
	v_mov_b32_e32 v3, v139
	v_pk_add_f32 v[28:29], v[30:31], v[28:29]
	v_pk_fma_f32 v[30:31], v[4:5], s[4:5], v[90:91] neg_lo:[0,0,1] neg_hi:[0,0,1]
	v_pk_add_f32 v[0:1], v[2:3], v[0:1]
	v_pk_fma_f32 v[2:3], v[4:5], s[34:35], v[140:141] neg_lo:[0,0,1] neg_hi:[0,0,1]
	v_mov_b32_e32 v31, v149
	v_mov_b32_e32 v3, v143
	v_pk_add_f32 v[28:29], v[30:31], v[28:29]
	v_pk_fma_f32 v[30:31], v[6:7], s[20:21], v[92:93] neg_lo:[0,0,1] neg_hi:[0,0,1]
	v_pk_add_f32 v[0:1], v[2:3], v[0:1]
	v_pk_fma_f32 v[2:3], v[6:7], s[14:15], v[144:145] neg_lo:[0,0,1] neg_hi:[0,0,1]
	v_accvgpr_read_b32 v231, a5
	v_accvgpr_read_b32 v227, a1
	;; [unrolled: 1-line block ×3, first 2 shown]
	v_mov_b32_e32 v31, v151
	v_mov_b32_e32 v3, v147
	v_accvgpr_read_b32 v230, a4
	v_accvgpr_read_b32 v226, a0
	;; [unrolled: 1-line block ×3, first 2 shown]
	v_pk_add_f32 v[28:29], v[30:31], v[28:29]
	v_pk_add_f32 v[0:1], v[2:3], v[0:1]
	ds_write2_b64 v99, v[28:29], v[32:33] offset0:16 offset1:18
	ds_write2_b64 v99, v[36:37], v[34:35] offset0:20 offset1:22
	ds_write_b64 v99, v[0:1] offset:192
.LBB0_17:
	s_or_b64 exec, exec, s[38:39]
	v_add_u32_e32 v4, 0x1800, v96
	s_waitcnt lgkmcnt(0)
	s_barrier
	v_add_u32_e32 v0, 0x600, v96
	ds_read2_b64 v[28:31], v4 offset0:12 offset1:129
	v_add_u32_e32 v4, 0xc00, v96
	ds_read2_b64 v[16:19], v96 offset1:117
	ds_read2_b64 v[0:3], v0 offset0:42 offset1:198
	ds_read2_b64 v[4:7], v4 offset0:123 offset1:240
	ds_read_b64 v[88:89], v96 offset:8112
	v_mov_b32_e32 v124, v12
	v_mov_b32_e32 v125, v12
	;; [unrolled: 1-line block ×18, first 2 shown]
	s_and_saveexec_b64 s[0:1], vcc
	s_cbranch_execz .LBB0_19
; %bb.18:
	ds_read_b64 v[32:33], v96 offset:2808
	ds_read_b64 v[36:37], v96 offset:5928
	;; [unrolled: 1-line block ×3, first 2 shown]
.LBB0_19:
	s_or_b64 exec, exec, s[0:1]
	s_waitcnt lgkmcnt(1)
	v_pk_mul_f32 v[100:101], v[8:9], v[4:5]
	v_pk_mul_f32 v[102:103], v[10:11], v[30:31]
	v_pk_mul_f32 v[8:9], v[20:21], v[36:37] op_sel_hi:[1,0]
	s_waitcnt lgkmcnt(0)
	v_pk_mul_f32 v[10:11], v[22:23], v[34:35] op_sel_hi:[1,0]
	v_pk_fma_f32 v[104:105], v[20:21], v[36:37], v[8:9] op_sel:[0,0,1] op_sel_hi:[1,1,0]
	v_pk_fma_f32 v[20:21], v[20:21], v[36:37], v[8:9] op_sel:[0,1,1] op_sel_hi:[1,1,0] neg_lo:[0,0,1] neg_hi:[0,0,1]
	v_pk_fma_f32 v[36:37], v[22:23], v[34:35], v[10:11] op_sel:[0,0,1] op_sel_hi:[1,1,0]
	v_pk_fma_f32 v[22:23], v[22:23], v[34:35], v[10:11] op_sel:[0,1,1] op_sel_hi:[1,1,0] neg_lo:[0,0,1] neg_hi:[0,0,1]
	v_mov_b32_e32 v8, v105
	v_mov_b32_e32 v9, v20
	;; [unrolled: 1-line block ×6, first 2 shown]
	v_pk_add_f32 v[34:35], v[8:9], v[10:11]
	v_pk_mul_f32 v[12:13], v[12:13], v[2:3]
	v_pk_fma_f32 v[34:35], v[34:35], 0.5, v[32:33] op_sel_hi:[1,0,1] neg_lo:[1,0,0] neg_hi:[1,0,0]
	v_pk_add_f32 v[22:23], v[20:21], v[22:23] neg_lo:[0,1] neg_hi:[0,1]
	s_mov_b32 s0, 0x3f5db3d7
	v_pk_mul_f32 v[14:15], v[14:15], v[28:29]
	v_pk_fma_f32 v[20:21], v[22:23], s[0:1], v[34:35] op_sel_hi:[1,0,1]
	v_pk_fma_f32 v[22:23], v[22:23], s[0:1], v[34:35] op_sel_hi:[1,0,1] neg_lo:[1,0,0] neg_hi:[1,0,0]
	v_pk_fma_f32 v[34:35], v[124:125], v[2:3], v[12:13] op_sel:[0,0,1] op_sel_hi:[1,1,0]
	v_pk_fma_f32 v[2:3], v[124:125], v[2:3], v[12:13] op_sel:[0,0,1] op_sel_hi:[1,1,0] neg_lo:[0,0,1] neg_hi:[0,0,1]
	v_pk_fma_f32 v[12:13], v[122:123], v[28:29], v[14:15] op_sel:[0,0,1] op_sel_hi:[1,1,0] neg_lo:[0,0,1] neg_hi:[0,0,1]
	v_mov_b32_e32 v35, v3
	v_pk_fma_f32 v[2:3], v[122:123], v[28:29], v[14:15] op_sel:[0,0,1] op_sel_hi:[1,1,0]
	s_nop 0
	v_mov_b32_e32 v3, v13
	v_pk_add_f32 v[12:13], v[16:17], v[34:35]
	v_pk_add_f32 v[14:15], v[34:35], v[2:3]
	;; [unrolled: 1-line block ×3, first 2 shown]
	v_pk_add_f32 v[2:3], v[34:35], v[2:3] neg_lo:[0,1] neg_hi:[0,1]
	v_pk_fma_f32 v[14:15], v[14:15], 0.5, v[16:17] op_sel_hi:[1,0,1] neg_lo:[1,0,0] neg_hi:[1,0,0]
	v_pk_mul_f32 v[2:3], v[2:3], s[0:1] op_sel_hi:[1,0]
	s_barrier
	v_pk_add_f32 v[16:17], v[14:15], v[2:3] op_sel:[0,1] op_sel_hi:[1,0] neg_lo:[0,1] neg_hi:[0,1]
	v_pk_add_f32 v[2:3], v[14:15], v[2:3] op_sel:[0,1] op_sel_hi:[1,0]
	s_nop 0
	v_mov_b32_e32 v15, v3
	v_mov_b32_e32 v3, v17
	;; [unrolled: 1-line block ×3, first 2 shown]
	ds_write_b64 v238, v[2:3] offset:416
	v_pk_fma_f32 v[2:3], v[92:93], v[4:5], v[100:101] op_sel:[0,0,1] op_sel_hi:[1,1,0]
	v_pk_fma_f32 v[4:5], v[92:93], v[4:5], v[100:101] op_sel:[0,0,1] op_sel_hi:[1,1,0] neg_lo:[0,0,1] neg_hi:[0,0,1]
	ds_write2_b64 v238, v[12:13], v[14:15] offset1:26
	v_mov_b32_e32 v3, v5
	v_pk_fma_f32 v[4:5], v[90:91], v[30:31], v[102:103] op_sel:[0,0,1] op_sel_hi:[1,1,0]
	v_pk_fma_f32 v[12:13], v[90:91], v[30:31], v[102:103] op_sel:[0,0,1] op_sel_hi:[1,1,0] neg_lo:[0,0,1] neg_hi:[0,0,1]
	v_pk_mul_f32 v[24:25], v[24:25], v[6:7]
	v_mov_b32_e32 v5, v13
	v_pk_add_f32 v[12:13], v[18:19], v[2:3]
	v_pk_add_f32 v[14:15], v[2:3], v[4:5]
	v_pk_add_f32 v[2:3], v[2:3], v[4:5] neg_lo:[0,1] neg_hi:[0,1]
	v_pk_fma_f32 v[14:15], v[14:15], 0.5, v[18:19] op_sel_hi:[1,0,1] neg_lo:[1,0,0] neg_hi:[1,0,0]
	v_pk_mul_f32 v[2:3], v[2:3], s[0:1] op_sel_hi:[1,0]
	v_pk_add_f32 v[12:13], v[12:13], v[4:5]
	v_pk_add_f32 v[4:5], v[14:15], v[2:3] op_sel:[0,1] op_sel_hi:[1,0] neg_lo:[0,1] neg_hi:[0,1]
	v_pk_add_f32 v[2:3], v[14:15], v[2:3] op_sel:[0,1] op_sel_hi:[1,0]
	v_pk_mul_f32 v[26:27], v[26:27], v[88:89]
	v_mov_b32_e32 v15, v3
	v_mov_b32_e32 v3, v5
	;; [unrolled: 1-line block ×3, first 2 shown]
	ds_write_b64 v237, v[2:3] offset:416
	v_pk_fma_f32 v[2:3], v[86:87], v[6:7], v[24:25] op_sel:[0,0,1] op_sel_hi:[1,1,0]
	v_pk_fma_f32 v[4:5], v[86:87], v[6:7], v[24:25] op_sel:[0,0,1] op_sel_hi:[1,1,0] neg_lo:[0,0,1] neg_hi:[0,0,1]
	v_pk_fma_f32 v[6:7], v[94:95], v[88:89], v[26:27] op_sel:[0,0,1] op_sel_hi:[1,1,0] neg_lo:[0,0,1] neg_hi:[0,0,1]
	v_mov_b32_e32 v3, v5
	v_pk_fma_f32 v[4:5], v[94:95], v[88:89], v[26:27] op_sel:[0,0,1] op_sel_hi:[1,1,0]
	ds_write2_b64 v237, v[12:13], v[14:15] offset1:26
	v_mov_b32_e32 v5, v7
	v_pk_add_f32 v[6:7], v[2:3], v[4:5]
	v_pk_add_f32 v[12:13], v[2:3], v[4:5] neg_lo:[0,1] neg_hi:[0,1]
	v_pk_fma_f32 v[6:7], v[6:7], 0.5, v[0:1] op_sel_hi:[1,0,1] neg_lo:[1,0,0] neg_hi:[1,0,0]
	v_pk_mul_f32 v[12:13], v[12:13], s[0:1] op_sel_hi:[1,0]
	v_pk_add_f32 v[0:1], v[0:1], v[2:3]
	v_pk_add_f32 v[14:15], v[6:7], v[12:13] op_sel:[0,1] op_sel_hi:[1,0]
	v_pk_add_f32 v[6:7], v[6:7], v[12:13] op_sel:[0,1] op_sel_hi:[1,0] neg_lo:[0,1] neg_hi:[0,1]
	v_mov_b32_e32 v84, v52
	v_mov_b32_e32 v85, v52
	;; [unrolled: 1-line block ×24, first 2 shown]
	v_pk_add_f32 v[0:1], v[0:1], v[4:5]
	v_mov_b32_e32 v2, v6
	v_mov_b32_e32 v3, v15
	;; [unrolled: 1-line block ×3, first 2 shown]
	ds_write2_b64 v239, v[0:1], v[2:3] offset1:26
	ds_write_b64 v239, v[14:15] offset:416
	s_and_saveexec_b64 s[0:1], vcc
	s_cbranch_execz .LBB0_21
; %bb.20:
	s_movk_i32 s4, 0x4e
	v_mad_legacy_u16 v0, v233, s4, v236
	v_lshlrev_b32_e32 v4, 3, v0
	v_pk_add_f32 v[0:1], v[32:33], v[8:9]
	v_mov_b32_e32 v2, v22
	v_pk_add_f32 v[0:1], v[0:1], v[10:11]
	v_mov_b32_e32 v3, v21
	ds_write2_b64 v4, v[0:1], v[2:3] offset1:26
	v_mov_b32_e32 v0, v20
	v_mov_b32_e32 v1, v23
	ds_write_b64 v4, v[0:1] offset:416
.LBB0_21:
	s_or_b64 exec, exec, s[0:1]
	v_add_u32_e32 v4, 0x400, v96
	s_waitcnt lgkmcnt(0)
	s_barrier
	ds_read2_b64 v[4:7], v4 offset0:106 offset1:223
	v_add_u32_e32 v86, 0xc00, v96
	ds_read2_b64 v[8:11], v86 offset0:84 offset1:201
	v_add_u32_e32 v12, 0x1400, v96
	;; [unrolled: 2-line block ×3, first 2 shown]
	s_waitcnt lgkmcnt(2)
	v_pk_mul_f32 v[36:37], v[44:45], v[4:5]
	ds_read2_b64 v[24:27], v16 offset0:40 offset1:157
	v_pk_fma_f32 v[44:45], v[76:77], v[4:5], v[36:37] op_sel:[0,0,1] op_sel_hi:[1,1,0]
	v_pk_fma_f32 v[4:5], v[76:77], v[4:5], v[36:37] op_sel:[0,0,1] op_sel_hi:[1,1,0] neg_lo:[0,0,1] neg_hi:[0,0,1]
	v_pk_mul_f32 v[16:17], v[52:53], v[6:7]
	v_mov_b32_e32 v45, v5
	s_waitcnt lgkmcnt(2)
	v_pk_mul_f32 v[4:5], v[46:47], v[8:9]
	ds_read2_b64 v[0:3], v96 offset1:117
	v_pk_fma_f32 v[36:37], v[74:75], v[8:9], v[4:5] op_sel:[0,0,1] op_sel_hi:[1,1,0]
	v_pk_fma_f32 v[4:5], v[74:75], v[8:9], v[4:5] op_sel:[0,0,1] op_sel_hi:[1,1,0] neg_lo:[0,0,1] neg_hi:[0,0,1]
	v_pk_fma_f32 v[18:19], v[84:85], v[6:7], v[16:17] op_sel:[0,0,1] op_sel_hi:[1,1,0]
	v_mov_b32_e32 v37, v5
	s_waitcnt lgkmcnt(2)
	v_pk_mul_f32 v[4:5], v[40:41], v[12:13]
	v_pk_fma_f32 v[6:7], v[84:85], v[6:7], v[16:17] op_sel:[0,0,1] op_sel_hi:[1,1,0] neg_lo:[0,0,1] neg_hi:[0,0,1]
	v_pk_fma_f32 v[8:9], v[72:73], v[12:13], v[4:5] op_sel:[0,0,1] op_sel_hi:[1,1,0]
	v_pk_fma_f32 v[4:5], v[72:73], v[12:13], v[4:5] op_sel:[0,0,1] op_sel_hi:[1,1,0] neg_lo:[0,0,1] neg_hi:[0,0,1]
	v_mov_b32_e32 v19, v7
	v_pk_mul_f32 v[6:7], v[54:55], v[10:11]
	v_mov_b32_e32 v9, v5
	s_waitcnt lgkmcnt(1)
	v_pk_mul_f32 v[4:5], v[42:43], v[24:25]
	v_pk_fma_f32 v[28:29], v[82:83], v[10:11], v[6:7] op_sel:[0,0,1] op_sel_hi:[1,1,0]
	v_pk_fma_f32 v[6:7], v[82:83], v[10:11], v[6:7] op_sel:[0,0,1] op_sel_hi:[1,1,0] neg_lo:[0,0,1] neg_hi:[0,0,1]
	v_pk_fma_f32 v[12:13], v[38:39], v[24:25], v[4:5] op_sel:[0,0,1] op_sel_hi:[1,1,0]
	v_pk_fma_f32 v[4:5], v[38:39], v[24:25], v[4:5] op_sel:[0,0,1] op_sel_hi:[1,1,0] neg_lo:[0,0,1] neg_hi:[0,0,1]
	v_mov_b32_e32 v29, v7
	v_pk_mul_f32 v[6:7], v[48:49], v[14:15]
	v_mov_b32_e32 v13, v5
	v_pk_fma_f32 v[10:11], v[80:81], v[14:15], v[6:7] op_sel:[0,0,1] op_sel_hi:[1,1,0]
	v_pk_fma_f32 v[6:7], v[80:81], v[14:15], v[6:7] op_sel:[0,0,1] op_sel_hi:[1,1,0] neg_lo:[0,0,1] neg_hi:[0,0,1]
	s_mov_b32 s0, 0x3f737871
	v_pk_add_f32 v[24:25], v[36:37], v[8:9]
	v_pk_add_f32 v[38:39], v[44:45], v[12:13] neg_lo:[0,1] neg_hi:[0,1]
	v_mov_b32_e32 v11, v7
	v_pk_mul_f32 v[6:7], v[50:51], v[26:27]
	s_mov_b32 s4, 0x3f167918
	s_waitcnt lgkmcnt(0)
	v_pk_fma_f32 v[24:25], v[24:25], 0.5, v[0:1] op_sel_hi:[1,0,1] neg_lo:[1,0,0] neg_hi:[1,0,0]
	v_pk_mul_f32 v[40:41], v[38:39], s[0:1] op_sel_hi:[1,0]
	v_pk_add_f32 v[42:43], v[36:37], v[8:9] neg_lo:[0,1] neg_hi:[0,1]
	v_pk_add_f32 v[48:49], v[44:45], v[36:37] neg_lo:[0,1] neg_hi:[0,1]
	;; [unrolled: 1-line block ×3, first 2 shown]
	v_pk_add_f32 v[4:5], v[0:1], v[44:45]
	v_pk_mul_f32 v[46:47], v[42:43], s[4:5] op_sel_hi:[1,0]
	v_pk_add_f32 v[48:49], v[48:49], v[50:51]
	v_pk_add_f32 v[50:51], v[24:25], v[40:41] op_sel:[0,1] op_sel_hi:[1,0] neg_lo:[0,1] neg_hi:[0,1]
	v_pk_add_f32 v[24:25], v[24:25], v[40:41] op_sel:[0,1] op_sel_hi:[1,0]
	v_pk_add_f32 v[4:5], v[4:5], v[36:37]
	v_pk_add_f32 v[24:25], v[24:25], v[46:47] op_sel:[0,1] op_sel_hi:[1,0]
	v_pk_add_f32 v[40:41], v[50:51], v[46:47] op_sel:[0,1] op_sel_hi:[1,0] neg_lo:[0,1] neg_hi:[0,1]
	s_mov_b32 s6, 0x3e9e377a
	v_pk_add_f32 v[4:5], v[4:5], v[8:9]
	v_mov_b32_e32 v46, v40
	v_mov_b32_e32 v47, v25
	v_pk_add_f32 v[4:5], v[4:5], v[12:13]
	v_pk_fma_f32 v[46:47], v[48:49], s[6:7], v[46:47] op_sel_hi:[1,0,1]
	s_barrier
	ds_write2_b64 v97, v[4:5], v[46:47] offset1:78
	v_pk_add_f32 v[4:5], v[44:45], v[12:13]
	v_pk_add_f32 v[8:9], v[8:9], v[12:13] neg_lo:[0,1] neg_hi:[0,1]
	v_pk_fma_f32 v[0:1], v[4:5], 0.5, v[0:1] op_sel_hi:[1,0,1] neg_lo:[1,0,0] neg_hi:[1,0,0]
	v_pk_add_f32 v[4:5], v[36:37], v[44:45] neg_lo:[0,1] neg_hi:[0,1]
	v_pk_mul_f32 v[12:13], v[38:39], s[4:5] op_sel_hi:[1,0]
	v_pk_add_f32 v[4:5], v[4:5], v[8:9]
	v_pk_mul_f32 v[8:9], v[42:43], s[0:1] op_sel_hi:[1,0]
	v_pk_fma_f32 v[14:15], v[78:79], v[26:27], v[6:7] op_sel:[0,0,1] op_sel_hi:[1,1,0]
	v_pk_add_f32 v[36:37], v[0:1], v[8:9] op_sel:[0,1] op_sel_hi:[1,0]
	v_pk_add_f32 v[0:1], v[0:1], v[8:9] op_sel:[0,1] op_sel_hi:[1,0] neg_lo:[0,1] neg_hi:[0,1]
	v_pk_add_f32 v[8:9], v[36:37], v[12:13] op_sel:[0,1] op_sel_hi:[1,0] neg_lo:[0,1] neg_hi:[0,1]
	v_pk_add_f32 v[0:1], v[0:1], v[12:13] op_sel:[0,1] op_sel_hi:[1,0]
	v_pk_fma_f32 v[6:7], v[78:79], v[26:27], v[6:7] op_sel:[0,0,1] op_sel_hi:[1,1,0] neg_lo:[0,0,1] neg_hi:[0,0,1]
	v_mov_b32_e32 v12, v8
	v_mov_b32_e32 v13, v1
	;; [unrolled: 1-line block ×4, first 2 shown]
	v_pk_add_f32 v[6:7], v[28:29], v[10:11]
	v_pk_fma_f32 v[12:13], v[4:5], s[6:7], v[12:13] op_sel_hi:[1,0,1]
	v_pk_fma_f32 v[0:1], v[4:5], s[6:7], v[0:1] op_sel_hi:[1,0,1]
	v_mov_b32_e32 v25, v41
	v_pk_fma_f32 v[6:7], v[6:7], 0.5, v[2:3] op_sel_hi:[1,0,1] neg_lo:[1,0,0] neg_hi:[1,0,0]
	v_pk_add_f32 v[26:27], v[18:19], v[14:15] neg_lo:[0,1] neg_hi:[0,1]
	v_pk_add_f32 v[16:17], v[18:19], v[28:29] neg_lo:[0,1] neg_hi:[0,1]
	;; [unrolled: 1-line block ×3, first 2 shown]
	ds_write2_b64 v97, v[12:13], v[0:1] offset0:156 offset1:234
	v_pk_fma_f32 v[0:1], v[48:49], s[6:7], v[24:25] op_sel_hi:[1,0,1]
	v_pk_add_f32 v[30:31], v[28:29], v[10:11] neg_lo:[0,1] neg_hi:[0,1]
	v_pk_add_f32 v[32:33], v[16:17], v[32:33]
	v_pk_fma_f32 v[16:17], v[26:27], s[0:1], v[6:7] op_sel:[1,0,0] op_sel_hi:[0,0,1]
	v_pk_fma_f32 v[6:7], v[26:27], s[0:1], v[6:7] op_sel:[1,0,0] op_sel_hi:[0,0,1] neg_lo:[1,0,0] neg_hi:[1,0,0]
	ds_write_b64 v97, v[0:1] offset:2496
	v_pk_add_f32 v[0:1], v[2:3], v[18:19]
	v_pk_fma_f32 v[6:7], v[30:31], s[4:5], v[6:7] op_sel:[1,0,0] op_sel_hi:[0,0,1] neg_lo:[1,0,0] neg_hi:[1,0,0]
	v_pk_fma_f32 v[34:35], v[30:31], s[4:5], v[16:17] op_sel:[1,0,0] op_sel_hi:[0,0,1]
	v_pk_add_f32 v[0:1], v[0:1], v[28:29]
	v_mov_b32_e32 v17, v7
	v_pk_add_f32 v[0:1], v[0:1], v[10:11]
	v_mov_b32_e32 v7, v35
	v_pk_add_f32 v[0:1], v[0:1], v[14:15]
	v_pk_fma_f32 v[4:5], v[32:33], s[6:7], v[6:7] op_sel_hi:[1,0,1]
	ds_write2_b64 v111, v[0:1], v[4:5] offset1:78
	v_pk_add_f32 v[0:1], v[18:19], v[14:15]
	v_pk_add_f32 v[4:5], v[10:11], v[14:15] neg_lo:[0,1] neg_hi:[0,1]
	v_pk_fma_f32 v[0:1], v[0:1], 0.5, v[2:3] op_sel_hi:[1,0,1] neg_lo:[1,0,0] neg_hi:[1,0,0]
	v_pk_add_f32 v[2:3], v[28:29], v[18:19] neg_lo:[0,1] neg_hi:[0,1]
	v_mov_b32_e32 v16, v34
	v_pk_add_f32 v[2:3], v[2:3], v[4:5]
	v_pk_fma_f32 v[4:5], v[30:31], s[0:1], v[0:1] op_sel:[1,0,0] op_sel_hi:[0,0,1]
	v_pk_fma_f32 v[0:1], v[30:31], s[0:1], v[0:1] op_sel:[1,0,0] op_sel_hi:[0,0,1] neg_lo:[1,0,0] neg_hi:[1,0,0]
	v_pk_fma_f32 v[0:1], v[26:27], s[4:5], v[0:1] op_sel:[1,0,0] op_sel_hi:[0,0,1]
	v_pk_fma_f32 v[4:5], v[26:27], s[4:5], v[4:5] op_sel:[1,0,0] op_sel_hi:[0,0,1] neg_lo:[1,0,0] neg_hi:[1,0,0]
	v_mov_b32_e32 v6, v4
	v_mov_b32_e32 v7, v1
	;; [unrolled: 1-line block ×3, first 2 shown]
	v_pk_fma_f32 v[6:7], v[2:3], s[6:7], v[6:7] op_sel_hi:[1,0,1]
	v_pk_fma_f32 v[0:1], v[2:3], s[6:7], v[0:1] op_sel_hi:[1,0,1]
	;; [unrolled: 1-line block ×3, first 2 shown]
	ds_write2_b64 v111, v[6:7], v[0:1] offset0:156 offset1:234
	ds_write_b64 v111, v[16:17] offset:2496
	v_add_u32_e32 v0, 0x600, v96
	v_add_u32_e32 v4, 0x1800, v96
	s_waitcnt lgkmcnt(0)
	s_barrier
	ds_read2_b64 v[8:11], v96 offset1:117
	ds_read2_b64 v[0:3], v0 offset0:42 offset1:198
	ds_read2_b64 v[12:15], v4 offset0:12 offset1:129
	;; [unrolled: 1-line block ×3, first 2 shown]
	ds_read_b64 v[18:19], v96 offset:8112
	s_and_saveexec_b64 s[0:1], s[2:3]
	s_xor_b64 s[0:1], exec, s[0:1]
	s_or_saveexec_b64 s[0:1], s[0:1]
	v_mov_b32_e32 v34, v60
	v_mov_b32_e32 v35, v60
	;; [unrolled: 1-line block ×18, first 2 shown]
	s_xor_b64 exec, exec, s[0:1]
	s_cbranch_execz .LBB0_23
; %bb.22:
	ds_read_b64 v[36:37], v96 offset:9048
	ds_read_b64 v[22:23], v96 offset:5928
	;; [unrolled: 1-line block ×3, first 2 shown]
	s_waitcnt lgkmcnt(2)
	v_mov_b32_e32 v20, v36
	s_waitcnt lgkmcnt(1)
	v_mov_b32_e32 v21, v23
	v_mov_b32_e32 v23, v37
.LBB0_23:
	s_or_b64 exec, exec, s[0:1]
	s_waitcnt lgkmcnt(3)
	v_pk_mul_f32 v[36:37], v[60:61], v[2:3]
	s_waitcnt lgkmcnt(2)
	v_pk_mul_f32 v[38:39], v[62:63], v[12:13]
	v_pk_fma_f32 v[48:49], v[34:35], v[2:3], v[36:37] op_sel:[0,0,1] op_sel_hi:[1,1,0]
	v_pk_fma_f32 v[2:3], v[34:35], v[2:3], v[36:37] op_sel:[0,0,1] op_sel_hi:[1,1,0] neg_lo:[0,0,1] neg_hi:[0,0,1]
	s_mov_b32 s0, 0x3f5db3d7
	v_mov_b32_e32 v49, v3
	v_pk_fma_f32 v[2:3], v[32:33], v[12:13], v[38:39] op_sel:[0,0,1] op_sel_hi:[1,1,0]
	v_pk_fma_f32 v[12:13], v[32:33], v[12:13], v[38:39] op_sel:[0,0,1] op_sel_hi:[1,1,0] neg_lo:[0,0,1] neg_hi:[0,0,1]
	s_waitcnt lgkmcnt(1)
	v_pk_mul_f32 v[40:41], v[64:65], v[4:5]
	v_mov_b32_e32 v3, v13
	v_pk_add_f32 v[12:13], v[8:9], v[48:49]
	v_pk_add_f32 v[32:33], v[48:49], v[2:3]
	;; [unrolled: 1-line block ×3, first 2 shown]
	v_pk_add_f32 v[2:3], v[48:49], v[2:3] neg_lo:[0,1] neg_hi:[0,1]
	v_pk_fma_f32 v[8:9], v[32:33], 0.5, v[8:9] op_sel_hi:[1,0,1] neg_lo:[1,0,0] neg_hi:[1,0,0]
	v_pk_mul_f32 v[2:3], v[2:3], s[0:1] op_sel_hi:[1,0]
	v_pk_mul_f32 v[42:43], v[66:67], v[14:15]
	v_pk_add_f32 v[32:33], v[8:9], v[2:3] op_sel:[0,1] op_sel_hi:[1,0] neg_lo:[0,1] neg_hi:[0,1]
	v_pk_add_f32 v[2:3], v[8:9], v[2:3] op_sel:[0,1] op_sel_hi:[1,0]
	v_mov_b32_e32 v8, v32
	v_mov_b32_e32 v9, v3
	;; [unrolled: 1-line block ×3, first 2 shown]
	ds_write_b64 v96, v[2:3] offset:6240
	v_pk_fma_f32 v[2:3], v[30:31], v[4:5], v[40:41] op_sel:[0,0,1] op_sel_hi:[1,1,0]
	v_pk_fma_f32 v[4:5], v[30:31], v[4:5], v[40:41] op_sel:[0,0,1] op_sel_hi:[1,1,0] neg_lo:[0,0,1] neg_hi:[0,0,1]
	ds_write_b64 v96, v[8:9] offset:3120
	v_mov_b32_e32 v3, v5
	v_pk_fma_f32 v[4:5], v[28:29], v[14:15], v[42:43] op_sel:[0,0,1] op_sel_hi:[1,1,0]
	v_pk_fma_f32 v[8:9], v[28:29], v[14:15], v[42:43] op_sel:[0,0,1] op_sel_hi:[1,1,0] neg_lo:[0,0,1] neg_hi:[0,0,1]
	v_pk_mul_f32 v[44:45], v[68:69], v[6:7]
	v_mov_b32_e32 v5, v9
	v_pk_add_f32 v[8:9], v[10:11], v[2:3]
	s_waitcnt lgkmcnt(2)
	v_pk_mul_f32 v[46:47], v[70:71], v[18:19]
	v_pk_add_f32 v[8:9], v[8:9], v[4:5]
	ds_write2_b64 v96, v[12:13], v[8:9] offset1:117
	v_pk_add_f32 v[8:9], v[2:3], v[4:5]
	v_pk_add_f32 v[2:3], v[2:3], v[4:5] neg_lo:[0,1] neg_hi:[0,1]
	v_pk_fma_f32 v[8:9], v[8:9], 0.5, v[10:11] op_sel_hi:[1,0,1] neg_lo:[1,0,0] neg_hi:[1,0,0]
	v_pk_mul_f32 v[2:3], v[2:3], s[0:1] op_sel_hi:[1,0]
	s_nop 0
	v_pk_add_f32 v[4:5], v[8:9], v[2:3] op_sel:[0,1] op_sel_hi:[1,0] neg_lo:[0,1] neg_hi:[0,1]
	v_pk_add_f32 v[2:3], v[8:9], v[2:3] op_sel:[0,1] op_sel_hi:[1,0]
	v_mov_b32_e32 v8, v4
	v_mov_b32_e32 v9, v3
	;; [unrolled: 1-line block ×3, first 2 shown]
	ds_write_b64 v96, v[2:3] offset:7176
	v_pk_fma_f32 v[2:3], v[26:27], v[6:7], v[44:45] op_sel:[0,0,1] op_sel_hi:[1,1,0]
	v_pk_fma_f32 v[4:5], v[26:27], v[6:7], v[44:45] op_sel:[0,0,1] op_sel_hi:[1,1,0] neg_lo:[0,0,1] neg_hi:[0,0,1]
	v_pk_fma_f32 v[6:7], v[24:25], v[18:19], v[46:47] op_sel:[0,0,1] op_sel_hi:[1,1,0] neg_lo:[0,0,1] neg_hi:[0,0,1]
	v_mov_b32_e32 v3, v5
	v_pk_fma_f32 v[4:5], v[24:25], v[18:19], v[46:47] op_sel:[0,0,1] op_sel_hi:[1,1,0]
	s_nop 0
	v_mov_b32_e32 v5, v7
	v_pk_add_f32 v[6:7], v[0:1], v[2:3]
	s_nop 0
	v_pk_add_f32 v[6:7], v[6:7], v[4:5]
	ds_write_b64 v96, v[6:7] offset:1872
	v_pk_add_f32 v[6:7], v[2:3], v[4:5]
	v_pk_add_f32 v[2:3], v[2:3], v[4:5] neg_lo:[0,1] neg_hi:[0,1]
	v_pk_fma_f32 v[0:1], v[6:7], 0.5, v[0:1] op_sel_hi:[1,0,1] neg_lo:[1,0,0] neg_hi:[1,0,0]
	v_pk_mul_f32 v[2:3], v[2:3], s[0:1] op_sel_hi:[1,0]
	s_nop 0
	v_pk_add_f32 v[4:5], v[0:1], v[2:3] op_sel:[0,1] op_sel_hi:[1,0] neg_lo:[0,1] neg_hi:[0,1]
	v_pk_add_f32 v[2:3], v[0:1], v[2:3] op_sel:[0,1] op_sel_hi:[1,0]
	v_mov_b32_e32 v6, v4
	v_mov_b32_e32 v7, v3
	v_add_u32_e32 v0, 0xc00, v96
	v_mov_b32_e32 v3, v5
	ds_write2_b64 v0, v[8:9], v[6:7] offset0:123 offset1:240
	ds_write_b64 v96, v[2:3] offset:8112
	s_and_saveexec_b64 s[2:3], vcc
	s_cbranch_execz .LBB0_25
; %bb.24:
	v_pk_mul_f32 v[2:3], v[56:57], v[20:21] op_sel:[0,1]
	v_pk_mul_f32 v[4:5], v[58:59], v[22:23] op_sel:[0,1]
	v_pk_fma_f32 v[6:7], v[56:57], v[22:23], v[2:3] op_sel:[0,0,1] op_sel_hi:[1,1,0]
	v_pk_fma_f32 v[2:3], v[56:57], v[22:23], v[2:3] op_sel:[0,0,1] op_sel_hi:[1,0,0] neg_lo:[1,0,0] neg_hi:[1,0,0]
	s_nop 0
	v_mov_b32_e32 v7, v3
	v_pk_fma_f32 v[2:3], v[58:59], v[20:21], v[4:5] op_sel:[0,0,1] op_sel_hi:[1,1,0]
	v_pk_fma_f32 v[4:5], v[58:59], v[20:21], v[4:5] op_sel:[0,0,1] op_sel_hi:[1,0,0] neg_lo:[1,0,0] neg_hi:[1,0,0]
	s_nop 0
	v_mov_b32_e32 v3, v5
	v_pk_add_f32 v[4:5], v[16:17], v[6:7]
	s_nop 0
	v_pk_add_f32 v[4:5], v[4:5], v[2:3]
	ds_write_b64 v96, v[4:5] offset:2808
	v_pk_add_f32 v[4:5], v[6:7], v[2:3]
	v_pk_add_f32 v[2:3], v[6:7], v[2:3] neg_lo:[0,1] neg_hi:[0,1]
	v_pk_fma_f32 v[4:5], -0.5, v[4:5], v[16:17] op_sel_hi:[0,1,1]
	v_pk_mul_f32 v[2:3], v[2:3], s[0:1] op_sel_hi:[1,0]
	s_nop 0
	v_pk_add_f32 v[6:7], v[4:5], v[2:3] op_sel:[0,1] op_sel_hi:[1,0] neg_lo:[0,1] neg_hi:[0,1]
	v_pk_add_f32 v[2:3], v[4:5], v[2:3] op_sel:[0,1] op_sel_hi:[1,0]
	v_mov_b32_e32 v4, v6
	v_mov_b32_e32 v5, v3
	;; [unrolled: 1-line block ×3, first 2 shown]
	ds_write_b64 v96, v[4:5] offset:5928
	ds_write_b64 v96, v[2:3] offset:9048
.LBB0_25:
	s_or_b64 exec, exec, s[2:3]
	s_waitcnt lgkmcnt(0)
	s_barrier
	ds_read2_b64 v[2:5], v96 offset1:117
	v_mad_u64_u32 v[8:9], s[0:1], s10, v110, 0
	v_mov_b32_e32 v10, v9
	v_mad_u64_u32 v[10:11], s[0:1], s11, v110, v[10:11]
	s_waitcnt lgkmcnt(0)
	v_mul_f32_e32 v1, v121, v3
	v_fmac_f32_e32 v1, v120, v2
	v_mov_b32_e32 v9, v10
	v_cvt_f64_f32_e32 v[10:11], v1
	v_mul_f32_e32 v1, v121, v2
	s_mov_b32 s0, 0x1c01c01c
	v_fma_f32 v1, v120, v3, -v1
	s_mov_b32 s1, 0x3f4c01c0
	v_cvt_f64_f32_e32 v[2:3], v1
	v_mul_f64 v[10:11], v[10:11], s[0:1]
	v_mul_f64 v[2:3], v[2:3], s[0:1]
	v_mad_u64_u32 v[12:13], s[2:3], s8, v98, 0
	v_cvt_f32_f64_e32 v10, v[10:11]
	v_cvt_f32_f64_e32 v11, v[2:3]
	v_mov_b32_e32 v2, v13
	v_mad_u64_u32 v[14:15], s[2:3], s9, v98, v[2:3]
	ds_read2_b64 v[0:3], v0 offset0:84 offset1:201
	v_mov_b32_e32 v6, s16
	v_mov_b32_e32 v7, s17
	v_lshl_add_u64 v[6:7], v[8:9], 3, v[6:7]
	v_mov_b32_e32 v13, v14
	s_waitcnt lgkmcnt(0)
	v_mul_f32_e32 v8, v115, v3
	v_fmac_f32_e32 v8, v114, v2
	v_mul_f32_e32 v2, v115, v2
	v_fma_f32 v2, v114, v3, -v2
	v_cvt_f64_f32_e32 v[8:9], v8
	v_cvt_f64_f32_e32 v[2:3], v2
	v_lshl_add_u64 v[6:7], v[12:13], 3, v[6:7]
	v_mul_f64 v[8:9], v[8:9], s[0:1]
	v_mul_f64 v[2:3], v[2:3], s[0:1]
	v_mov_b32_e32 v14, 0x1248
	global_store_dwordx2 v[6:7], v[10:11], off
	v_cvt_f32_f64_e32 v8, v[8:9]
	v_cvt_f32_f64_e32 v9, v[2:3]
	v_mad_u64_u32 v[2:3], s[2:3], s8, v14, v[6:7]
	v_mul_f32_e32 v6, v117, v5
	v_fmac_f32_e32 v6, v116, v4
	v_mul_f32_e32 v4, v117, v4
	s_mul_i32 s4, s9, 0x1248
	v_fma_f32 v4, v116, v5, -v4
	v_add_u32_e32 v3, s4, v3
	v_cvt_f64_f32_e32 v[6:7], v6
	v_cvt_f64_f32_e32 v[4:5], v4
	v_mov_b32_e32 v15, 0xfffff160
	global_store_dwordx2 v[2:3], v[8:9], off
	v_mul_f64 v[6:7], v[6:7], s[0:1]
	v_mul_f64 v[4:5], v[4:5], s[0:1]
	v_mad_u64_u32 v[10:11], s[2:3], s8, v15, v[2:3]
	v_add_u32_e32 v2, 0x1400, v96
	v_cvt_f32_f64_e32 v6, v[6:7]
	v_cvt_f32_f64_e32 v7, v[4:5]
	ds_read2_b64 v[2:5], v2 offset0:62 offset1:179
	s_mul_i32 s2, s9, 0xfffff160
	s_sub_i32 s5, s2, s8
	v_add_u32_e32 v11, s5, v11
	global_store_dwordx2 v[10:11], v[6:7], off
	s_waitcnt lgkmcnt(0)
	v_mul_f32_e32 v6, v119, v3
	v_fmac_f32_e32 v6, v118, v2
	v_mul_f32_e32 v2, v119, v2
	v_fma_f32 v2, v118, v3, -v2
	v_cvt_f64_f32_e32 v[2:3], v2
	v_cvt_f64_f32_e32 v[6:7], v6
	v_mul_f64 v[2:3], v[2:3], s[0:1]
	v_mul_f64 v[6:7], v[6:7], s[0:1]
	v_cvt_f32_f64_e32 v13, v[2:3]
	v_add_u32_e32 v2, 0x400, v96
	v_cvt_f32_f64_e32 v12, v[6:7]
	ds_read2_b64 v[6:9], v2 offset0:106 offset1:223
	v_mad_u64_u32 v[2:3], s[2:3], s8, v14, v[10:11]
	v_add_u32_e32 v3, s4, v3
	global_store_dwordx2 v[2:3], v[12:13], off
	s_waitcnt lgkmcnt(0)
	v_mul_f32_e32 v10, v113, v7
	v_fmac_f32_e32 v10, v112, v6
	v_mul_f32_e32 v6, v113, v6
	v_fma_f32 v6, v112, v7, -v6
	v_cvt_f64_f32_e32 v[10:11], v10
	v_cvt_f64_f32_e32 v[6:7], v6
	v_mul_f64 v[10:11], v[10:11], s[0:1]
	v_mul_f64 v[6:7], v[6:7], s[0:1]
	v_cvt_f32_f64_e32 v10, v[10:11]
	v_cvt_f32_f64_e32 v11, v[6:7]
	v_mad_u64_u32 v[2:3], s[2:3], s8, v15, v[2:3]
	v_mul_f32_e32 v6, v107, v5
	v_add_u32_e32 v3, s5, v3
	v_fmac_f32_e32 v6, v106, v4
	v_mul_f32_e32 v4, v107, v4
	global_store_dwordx2 v[2:3], v[10:11], off
	v_fma_f32 v4, v106, v5, -v4
	v_mad_u64_u32 v[10:11], s[2:3], s8, v14, v[2:3]
	v_mul_f32_e32 v2, v109, v9
	v_cvt_f64_f32_e32 v[6:7], v6
	v_cvt_f64_f32_e32 v[4:5], v4
	v_fmac_f32_e32 v2, v108, v8
	v_mul_f64 v[6:7], v[6:7], s[0:1]
	v_mul_f64 v[4:5], v[4:5], s[0:1]
	v_cvt_f64_f32_e32 v[2:3], v2
	v_cvt_f32_f64_e32 v6, v[6:7]
	v_cvt_f32_f64_e32 v7, v[4:5]
	v_add_u32_e32 v11, s4, v11
	v_mul_f64 v[2:3], v[2:3], s[0:1]
	global_store_dwordx2 v[10:11], v[6:7], off
	v_cvt_f32_f64_e32 v6, v[2:3]
	v_mul_f32_e32 v2, v109, v8
	v_fma_f32 v2, v108, v9, -v2
	v_cvt_f64_f32_e32 v[2:3], v2
	v_mul_f64 v[2:3], v[2:3], s[0:1]
	v_cvt_f32_f64_e32 v7, v[2:3]
	v_add_u32_e32 v2, 0x1c00, v96
	ds_read2_b64 v[2:5], v2 offset0:40 offset1:157
	v_mad_u64_u32 v[8:9], s[2:3], s8, v15, v[10:11]
	v_add_u32_e32 v9, s5, v9
	global_store_dwordx2 v[8:9], v[6:7], off
	s_waitcnt lgkmcnt(0)
	v_mul_f32_e32 v6, v231, v3
	v_fmac_f32_e32 v6, v230, v2
	v_mul_f32_e32 v2, v231, v2
	v_fma_f32 v2, v230, v3, -v2
	v_cvt_f64_f32_e32 v[6:7], v6
	v_cvt_f64_f32_e32 v[2:3], v2
	v_mul_f64 v[6:7], v[6:7], s[0:1]
	v_mul_f64 v[2:3], v[2:3], s[0:1]
	v_cvt_f32_f64_e32 v6, v[6:7]
	v_cvt_f32_f64_e32 v7, v[2:3]
	v_mad_u64_u32 v[2:3], s[2:3], s8, v14, v[8:9]
	v_add_u32_e32 v3, s4, v3
	global_store_dwordx2 v[2:3], v[6:7], off
	v_mul_f32_e32 v6, v227, v1
	v_fmac_f32_e32 v6, v226, v0
	v_mul_f32_e32 v0, v227, v0
	v_fma_f32 v0, v226, v1, -v0
	v_cvt_f64_f32_e32 v[6:7], v6
	v_cvt_f64_f32_e32 v[0:1], v0
	v_mul_f64 v[6:7], v[6:7], s[0:1]
	v_mul_f64 v[0:1], v[0:1], s[0:1]
	v_cvt_f32_f64_e32 v6, v[6:7]
	v_cvt_f32_f64_e32 v7, v[0:1]
	v_mad_u64_u32 v[0:1], s[2:3], s8, v15, v[2:3]
	v_mul_f32_e32 v2, v229, v5
	v_fmac_f32_e32 v2, v228, v4
	v_cvt_f64_f32_e32 v[2:3], v2
	v_mul_f64 v[2:3], v[2:3], s[0:1]
	v_cvt_f32_f64_e32 v2, v[2:3]
	v_mul_f32_e32 v3, v229, v4
	v_fma_f32 v3, v228, v5, -v3
	v_add_u32_e32 v1, s5, v1
	v_cvt_f64_f32_e32 v[4:5], v3
	global_store_dwordx2 v[0:1], v[6:7], off
	v_mul_f64 v[4:5], v[4:5], s[0:1]
	v_mad_u64_u32 v[0:1], s[0:1], s8, v14, v[0:1]
	v_cvt_f32_f64_e32 v3, v[4:5]
	v_add_u32_e32 v1, s4, v1
	global_store_dwordx2 v[0:1], v[2:3], off
.LBB0_26:
	s_endpgm
	.section	.rodata,"a",@progbits
	.p2align	6, 0x0
	.amdhsa_kernel bluestein_single_back_len1170_dim1_sp_op_CI_CI
		.amdhsa_group_segment_fixed_size 9360
		.amdhsa_private_segment_fixed_size 0
		.amdhsa_kernarg_size 104
		.amdhsa_user_sgpr_count 2
		.amdhsa_user_sgpr_dispatch_ptr 0
		.amdhsa_user_sgpr_queue_ptr 0
		.amdhsa_user_sgpr_kernarg_segment_ptr 1
		.amdhsa_user_sgpr_dispatch_id 0
		.amdhsa_user_sgpr_kernarg_preload_length 0
		.amdhsa_user_sgpr_kernarg_preload_offset 0
		.amdhsa_user_sgpr_private_segment_size 0
		.amdhsa_uses_dynamic_stack 0
		.amdhsa_enable_private_segment 0
		.amdhsa_system_sgpr_workgroup_id_x 1
		.amdhsa_system_sgpr_workgroup_id_y 0
		.amdhsa_system_sgpr_workgroup_id_z 0
		.amdhsa_system_sgpr_workgroup_info 0
		.amdhsa_system_vgpr_workitem_id 0
		.amdhsa_next_free_vgpr 262
		.amdhsa_next_free_sgpr 54
		.amdhsa_accum_offset 256
		.amdhsa_reserve_vcc 1
		.amdhsa_float_round_mode_32 0
		.amdhsa_float_round_mode_16_64 0
		.amdhsa_float_denorm_mode_32 3
		.amdhsa_float_denorm_mode_16_64 3
		.amdhsa_dx10_clamp 1
		.amdhsa_ieee_mode 1
		.amdhsa_fp16_overflow 0
		.amdhsa_tg_split 0
		.amdhsa_exception_fp_ieee_invalid_op 0
		.amdhsa_exception_fp_denorm_src 0
		.amdhsa_exception_fp_ieee_div_zero 0
		.amdhsa_exception_fp_ieee_overflow 0
		.amdhsa_exception_fp_ieee_underflow 0
		.amdhsa_exception_fp_ieee_inexact 0
		.amdhsa_exception_int_div_zero 0
	.end_amdhsa_kernel
	.text
.Lfunc_end0:
	.size	bluestein_single_back_len1170_dim1_sp_op_CI_CI, .Lfunc_end0-bluestein_single_back_len1170_dim1_sp_op_CI_CI
                                        ; -- End function
	.section	.AMDGPU.csdata,"",@progbits
; Kernel info:
; codeLenInByte = 15024
; NumSgprs: 60
; NumVgprs: 256
; NumAgprs: 6
; TotalNumVgprs: 262
; ScratchSize: 0
; MemoryBound: 0
; FloatMode: 240
; IeeeMode: 1
; LDSByteSize: 9360 bytes/workgroup (compile time only)
; SGPRBlocks: 7
; VGPRBlocks: 32
; NumSGPRsForWavesPerEU: 60
; NumVGPRsForWavesPerEU: 262
; AccumOffset: 256
; Occupancy: 1
; WaveLimiterHint : 1
; COMPUTE_PGM_RSRC2:SCRATCH_EN: 0
; COMPUTE_PGM_RSRC2:USER_SGPR: 2
; COMPUTE_PGM_RSRC2:TRAP_HANDLER: 0
; COMPUTE_PGM_RSRC2:TGID_X_EN: 1
; COMPUTE_PGM_RSRC2:TGID_Y_EN: 0
; COMPUTE_PGM_RSRC2:TGID_Z_EN: 0
; COMPUTE_PGM_RSRC2:TIDIG_COMP_CNT: 0
; COMPUTE_PGM_RSRC3_GFX90A:ACCUM_OFFSET: 63
; COMPUTE_PGM_RSRC3_GFX90A:TG_SPLIT: 0
	.text
	.p2alignl 6, 3212836864
	.fill 256, 4, 3212836864
	.type	__hip_cuid_d41ec9f4a776266d,@object ; @__hip_cuid_d41ec9f4a776266d
	.section	.bss,"aw",@nobits
	.globl	__hip_cuid_d41ec9f4a776266d
__hip_cuid_d41ec9f4a776266d:
	.byte	0                               ; 0x0
	.size	__hip_cuid_d41ec9f4a776266d, 1

	.ident	"AMD clang version 19.0.0git (https://github.com/RadeonOpenCompute/llvm-project roc-6.4.0 25133 c7fe45cf4b819c5991fe208aaa96edf142730f1d)"
	.section	".note.GNU-stack","",@progbits
	.addrsig
	.addrsig_sym __hip_cuid_d41ec9f4a776266d
	.amdgpu_metadata
---
amdhsa.kernels:
  - .agpr_count:     6
    .args:
      - .actual_access:  read_only
        .address_space:  global
        .offset:         0
        .size:           8
        .value_kind:     global_buffer
      - .actual_access:  read_only
        .address_space:  global
        .offset:         8
        .size:           8
        .value_kind:     global_buffer
      - .actual_access:  read_only
        .address_space:  global
        .offset:         16
        .size:           8
        .value_kind:     global_buffer
      - .actual_access:  read_only
        .address_space:  global
        .offset:         24
        .size:           8
        .value_kind:     global_buffer
      - .actual_access:  read_only
        .address_space:  global
        .offset:         32
        .size:           8
        .value_kind:     global_buffer
      - .offset:         40
        .size:           8
        .value_kind:     by_value
      - .address_space:  global
        .offset:         48
        .size:           8
        .value_kind:     global_buffer
      - .address_space:  global
        .offset:         56
        .size:           8
        .value_kind:     global_buffer
      - .address_space:  global
        .offset:         64
        .size:           8
        .value_kind:     global_buffer
      - .address_space:  global
        .offset:         72
        .size:           8
        .value_kind:     global_buffer
      - .offset:         80
        .size:           4
        .value_kind:     by_value
      - .address_space:  global
        .offset:         88
        .size:           8
        .value_kind:     global_buffer
      - .address_space:  global
        .offset:         96
        .size:           8
        .value_kind:     global_buffer
    .group_segment_fixed_size: 9360
    .kernarg_segment_align: 8
    .kernarg_segment_size: 104
    .language:       OpenCL C
    .language_version:
      - 2
      - 0
    .max_flat_workgroup_size: 117
    .name:           bluestein_single_back_len1170_dim1_sp_op_CI_CI
    .private_segment_fixed_size: 0
    .sgpr_count:     60
    .sgpr_spill_count: 0
    .symbol:         bluestein_single_back_len1170_dim1_sp_op_CI_CI.kd
    .uniform_work_group_size: 1
    .uses_dynamic_stack: false
    .vgpr_count:     262
    .vgpr_spill_count: 0
    .wavefront_size: 64
amdhsa.target:   amdgcn-amd-amdhsa--gfx950
amdhsa.version:
  - 1
  - 2
...

	.end_amdgpu_metadata
